;; amdgpu-corpus repo=ROCm/rocFFT kind=compiled arch=gfx1030 opt=O3
	.text
	.amdgcn_target "amdgcn-amd-amdhsa--gfx1030"
	.amdhsa_code_object_version 6
	.protected	fft_rtc_back_len1755_factors_13_3_3_3_5_wgs_117_tpt_117_halfLds_sp_op_CI_CI_sbrr_dirReg ; -- Begin function fft_rtc_back_len1755_factors_13_3_3_3_5_wgs_117_tpt_117_halfLds_sp_op_CI_CI_sbrr_dirReg
	.globl	fft_rtc_back_len1755_factors_13_3_3_3_5_wgs_117_tpt_117_halfLds_sp_op_CI_CI_sbrr_dirReg
	.p2align	8
	.type	fft_rtc_back_len1755_factors_13_3_3_3_5_wgs_117_tpt_117_halfLds_sp_op_CI_CI_sbrr_dirReg,@function
fft_rtc_back_len1755_factors_13_3_3_3_5_wgs_117_tpt_117_halfLds_sp_op_CI_CI_sbrr_dirReg: ; @fft_rtc_back_len1755_factors_13_3_3_3_5_wgs_117_tpt_117_halfLds_sp_op_CI_CI_sbrr_dirReg
; %bb.0:
	s_clause 0x2
	s_load_dwordx4 s[16:19], s[4:5], 0x18
	s_load_dwordx4 s[12:15], s[4:5], 0x0
	;; [unrolled: 1-line block ×3, first 2 shown]
	v_mul_u32_u24_e32 v1, 0x231, v0
	v_mov_b32_e32 v5, 0
	v_mov_b32_e32 v57, 0
	;; [unrolled: 1-line block ×3, first 2 shown]
	s_waitcnt lgkmcnt(0)
	s_load_dwordx2 s[20:21], s[16:17], 0x0
	s_load_dwordx2 s[2:3], s[18:19], 0x0
	v_cmp_lt_u64_e64 s0, s[14:15], 2
	v_add_nc_u32_sdwa v7, s6, v1 dst_sel:DWORD dst_unused:UNUSED_PAD src0_sel:DWORD src1_sel:WORD_1
	v_mov_b32_e32 v8, v5
	s_and_b32 vcc_lo, exec_lo, s0
	s_cbranch_vccnz .LBB0_8
; %bb.1:
	s_load_dwordx2 s[0:1], s[4:5], 0x10
	v_mov_b32_e32 v57, 0
	v_mov_b32_e32 v58, 0
	s_add_u32 s6, s18, 8
	s_addc_u32 s7, s19, 0
	v_mov_b32_e32 v1, v57
	s_add_u32 s22, s16, 8
	v_mov_b32_e32 v2, v58
	s_addc_u32 s23, s17, 0
	s_mov_b64 s[26:27], 1
	s_waitcnt lgkmcnt(0)
	s_add_u32 s24, s0, 8
	s_addc_u32 s25, s1, 0
.LBB0_2:                                ; =>This Inner Loop Header: Depth=1
	s_load_dwordx2 s[28:29], s[24:25], 0x0
                                        ; implicit-def: $vgpr3_vgpr4
	s_mov_b32 s0, exec_lo
	s_waitcnt lgkmcnt(0)
	v_or_b32_e32 v6, s29, v8
	v_cmpx_ne_u64_e32 0, v[5:6]
	s_xor_b32 s1, exec_lo, s0
	s_cbranch_execz .LBB0_4
; %bb.3:                                ;   in Loop: Header=BB0_2 Depth=1
	v_cvt_f32_u32_e32 v3, s28
	v_cvt_f32_u32_e32 v4, s29
	s_sub_u32 s0, 0, s28
	s_subb_u32 s30, 0, s29
	v_fmac_f32_e32 v3, 0x4f800000, v4
	v_rcp_f32_e32 v3, v3
	v_mul_f32_e32 v3, 0x5f7ffffc, v3
	v_mul_f32_e32 v4, 0x2f800000, v3
	v_trunc_f32_e32 v4, v4
	v_fmac_f32_e32 v3, 0xcf800000, v4
	v_cvt_u32_f32_e32 v4, v4
	v_cvt_u32_f32_e32 v3, v3
	v_mul_lo_u32 v6, s0, v4
	v_mul_hi_u32 v9, s0, v3
	v_mul_lo_u32 v10, s30, v3
	v_add_nc_u32_e32 v6, v9, v6
	v_mul_lo_u32 v9, s0, v3
	v_add_nc_u32_e32 v6, v6, v10
	v_mul_hi_u32 v10, v3, v9
	v_mul_lo_u32 v11, v3, v6
	v_mul_hi_u32 v12, v3, v6
	v_mul_hi_u32 v13, v4, v9
	v_mul_lo_u32 v9, v4, v9
	v_mul_hi_u32 v14, v4, v6
	v_mul_lo_u32 v6, v4, v6
	v_add_co_u32 v10, vcc_lo, v10, v11
	v_add_co_ci_u32_e32 v11, vcc_lo, 0, v12, vcc_lo
	v_add_co_u32 v9, vcc_lo, v10, v9
	v_add_co_ci_u32_e32 v9, vcc_lo, v11, v13, vcc_lo
	v_add_co_ci_u32_e32 v10, vcc_lo, 0, v14, vcc_lo
	v_add_co_u32 v6, vcc_lo, v9, v6
	v_add_co_ci_u32_e32 v9, vcc_lo, 0, v10, vcc_lo
	v_add_co_u32 v3, vcc_lo, v3, v6
	v_add_co_ci_u32_e32 v4, vcc_lo, v4, v9, vcc_lo
	v_mul_hi_u32 v6, s0, v3
	v_mul_lo_u32 v10, s30, v3
	v_mul_lo_u32 v9, s0, v4
	v_add_nc_u32_e32 v6, v6, v9
	v_mul_lo_u32 v9, s0, v3
	v_add_nc_u32_e32 v6, v6, v10
	v_mul_hi_u32 v10, v3, v9
	v_mul_lo_u32 v11, v3, v6
	v_mul_hi_u32 v12, v3, v6
	v_mul_hi_u32 v13, v4, v9
	v_mul_lo_u32 v9, v4, v9
	v_mul_hi_u32 v14, v4, v6
	v_mul_lo_u32 v6, v4, v6
	v_add_co_u32 v10, vcc_lo, v10, v11
	v_add_co_ci_u32_e32 v11, vcc_lo, 0, v12, vcc_lo
	v_add_co_u32 v9, vcc_lo, v10, v9
	v_add_co_ci_u32_e32 v9, vcc_lo, v11, v13, vcc_lo
	v_add_co_ci_u32_e32 v10, vcc_lo, 0, v14, vcc_lo
	v_add_co_u32 v6, vcc_lo, v9, v6
	v_add_co_ci_u32_e32 v9, vcc_lo, 0, v10, vcc_lo
	v_add_co_u32 v6, vcc_lo, v3, v6
	v_add_co_ci_u32_e32 v11, vcc_lo, v4, v9, vcc_lo
	v_mul_hi_u32 v13, v7, v6
	v_mad_u64_u32 v[9:10], null, v8, v6, 0
	v_mad_u64_u32 v[3:4], null, v7, v11, 0
	v_mad_u64_u32 v[11:12], null, v8, v11, 0
	v_add_co_u32 v3, vcc_lo, v13, v3
	v_add_co_ci_u32_e32 v4, vcc_lo, 0, v4, vcc_lo
	v_add_co_u32 v3, vcc_lo, v3, v9
	v_add_co_ci_u32_e32 v3, vcc_lo, v4, v10, vcc_lo
	v_add_co_ci_u32_e32 v4, vcc_lo, 0, v12, vcc_lo
	v_add_co_u32 v6, vcc_lo, v3, v11
	v_add_co_ci_u32_e32 v9, vcc_lo, 0, v4, vcc_lo
	v_mul_lo_u32 v10, s29, v6
	v_mad_u64_u32 v[3:4], null, s28, v6, 0
	v_mul_lo_u32 v11, s28, v9
	v_sub_co_u32 v3, vcc_lo, v7, v3
	v_add3_u32 v4, v4, v11, v10
	v_sub_nc_u32_e32 v10, v8, v4
	v_subrev_co_ci_u32_e64 v10, s0, s29, v10, vcc_lo
	v_add_co_u32 v11, s0, v6, 2
	v_add_co_ci_u32_e64 v12, s0, 0, v9, s0
	v_sub_co_u32 v13, s0, v3, s28
	v_sub_co_ci_u32_e32 v4, vcc_lo, v8, v4, vcc_lo
	v_subrev_co_ci_u32_e64 v10, s0, 0, v10, s0
	v_cmp_le_u32_e32 vcc_lo, s28, v13
	v_cmp_eq_u32_e64 s0, s29, v4
	v_cndmask_b32_e64 v13, 0, -1, vcc_lo
	v_cmp_le_u32_e32 vcc_lo, s29, v10
	v_cndmask_b32_e64 v14, 0, -1, vcc_lo
	v_cmp_le_u32_e32 vcc_lo, s28, v3
	;; [unrolled: 2-line block ×3, first 2 shown]
	v_cndmask_b32_e64 v15, 0, -1, vcc_lo
	v_cmp_eq_u32_e32 vcc_lo, s29, v10
	v_cndmask_b32_e64 v3, v15, v3, s0
	v_cndmask_b32_e32 v10, v14, v13, vcc_lo
	v_add_co_u32 v13, vcc_lo, v6, 1
	v_add_co_ci_u32_e32 v14, vcc_lo, 0, v9, vcc_lo
	v_cmp_ne_u32_e32 vcc_lo, 0, v10
	v_cndmask_b32_e32 v4, v14, v12, vcc_lo
	v_cndmask_b32_e32 v10, v13, v11, vcc_lo
	v_cmp_ne_u32_e32 vcc_lo, 0, v3
	v_cndmask_b32_e32 v4, v9, v4, vcc_lo
	v_cndmask_b32_e32 v3, v6, v10, vcc_lo
.LBB0_4:                                ;   in Loop: Header=BB0_2 Depth=1
	s_andn2_saveexec_b32 s0, s1
	s_cbranch_execz .LBB0_6
; %bb.5:                                ;   in Loop: Header=BB0_2 Depth=1
	v_cvt_f32_u32_e32 v3, s28
	s_sub_i32 s1, 0, s28
	v_rcp_iflag_f32_e32 v3, v3
	v_mul_f32_e32 v3, 0x4f7ffffe, v3
	v_cvt_u32_f32_e32 v3, v3
	v_mul_lo_u32 v4, s1, v3
	v_mul_hi_u32 v4, v3, v4
	v_add_nc_u32_e32 v3, v3, v4
	v_mul_hi_u32 v3, v7, v3
	v_mul_lo_u32 v4, v3, s28
	v_add_nc_u32_e32 v6, 1, v3
	v_sub_nc_u32_e32 v4, v7, v4
	v_subrev_nc_u32_e32 v9, s28, v4
	v_cmp_le_u32_e32 vcc_lo, s28, v4
	v_cndmask_b32_e32 v4, v4, v9, vcc_lo
	v_cndmask_b32_e32 v3, v3, v6, vcc_lo
	v_cmp_le_u32_e32 vcc_lo, s28, v4
	v_add_nc_u32_e32 v6, 1, v3
	v_mov_b32_e32 v4, v5
	v_cndmask_b32_e32 v3, v3, v6, vcc_lo
.LBB0_6:                                ;   in Loop: Header=BB0_2 Depth=1
	s_or_b32 exec_lo, exec_lo, s0
	v_mul_lo_u32 v6, v4, s28
	v_mul_lo_u32 v11, v3, s29
	s_load_dwordx2 s[0:1], s[22:23], 0x0
	v_mad_u64_u32 v[9:10], null, v3, s28, 0
	s_load_dwordx2 s[28:29], s[6:7], 0x0
	s_add_u32 s26, s26, 1
	s_addc_u32 s27, s27, 0
	s_add_u32 s6, s6, 8
	s_addc_u32 s7, s7, 0
	s_add_u32 s22, s22, 8
	v_add3_u32 v6, v10, v11, v6
	v_sub_co_u32 v7, vcc_lo, v7, v9
	s_addc_u32 s23, s23, 0
	s_add_u32 s24, s24, 8
	v_sub_co_ci_u32_e32 v6, vcc_lo, v8, v6, vcc_lo
	s_addc_u32 s25, s25, 0
	s_waitcnt lgkmcnt(0)
	v_mul_lo_u32 v8, s0, v6
	v_mul_lo_u32 v9, s1, v7
	v_mad_u64_u32 v[57:58], null, s0, v7, v[57:58]
	v_mul_lo_u32 v6, s28, v6
	v_mul_lo_u32 v10, s29, v7
	v_mad_u64_u32 v[1:2], null, s28, v7, v[1:2]
	v_cmp_ge_u64_e64 s0, s[26:27], s[14:15]
	v_add3_u32 v58, v9, v58, v8
	v_add3_u32 v2, v10, v2, v6
	s_and_b32 vcc_lo, exec_lo, s0
	s_cbranch_vccnz .LBB0_9
; %bb.7:                                ;   in Loop: Header=BB0_2 Depth=1
	v_mov_b32_e32 v8, v4
	v_mov_b32_e32 v7, v3
	s_branch .LBB0_2
.LBB0_8:
	v_mov_b32_e32 v1, v57
	v_mov_b32_e32 v3, v7
	;; [unrolled: 1-line block ×4, first 2 shown]
.LBB0_9:
	s_load_dwordx2 s[0:1], s[4:5], 0x28
	v_mul_hi_u32 v5, 0x2302303, v0
	s_lshl_b64 s[6:7], s[14:15], 3
                                        ; implicit-def: $sgpr14
                                        ; implicit-def: $vgpr59
	s_add_u32 s4, s18, s6
	s_addc_u32 s5, s19, s7
	s_waitcnt lgkmcnt(0)
	v_cmp_gt_u64_e32 vcc_lo, s[0:1], v[3:4]
	v_cmp_le_u64_e64 s0, s[0:1], v[3:4]
	s_and_saveexec_b32 s1, s0
	s_xor_b32 s0, exec_lo, s1
; %bb.10:
	v_mul_u32_u24_e32 v5, 0x75, v5
	s_mov_b32 s14, 0
                                        ; implicit-def: $vgpr57_vgpr58
	v_sub_nc_u32_e32 v59, v0, v5
                                        ; implicit-def: $vgpr5
                                        ; implicit-def: $vgpr0
; %bb.11:
	s_or_saveexec_b32 s1, s0
	s_load_dwordx2 s[4:5], s[4:5], 0x0
	v_mov_b32_e32 v10, s14
	v_mov_b32_e32 v9, s14
                                        ; implicit-def: $vgpr42
                                        ; implicit-def: $vgpr50
                                        ; implicit-def: $vgpr48
                                        ; implicit-def: $vgpr34
                                        ; implicit-def: $vgpr44
                                        ; implicit-def: $vgpr28
                                        ; implicit-def: $vgpr20
                                        ; implicit-def: $vgpr32
                                        ; implicit-def: $vgpr26
                                        ; implicit-def: $vgpr14
                                        ; implicit-def: $vgpr18
                                        ; implicit-def: $vgpr12
                                        ; implicit-def: $vgpr6
                                        ; implicit-def: $vgpr38
                                        ; implicit-def: $vgpr40
                                        ; implicit-def: $vgpr30
                                        ; implicit-def: $vgpr22
                                        ; implicit-def: $vgpr16
                                        ; implicit-def: $vgpr8
                                        ; implicit-def: $vgpr54
                                        ; implicit-def: $vgpr56
                                        ; implicit-def: $vgpr52
                                        ; implicit-def: $vgpr46
                                        ; implicit-def: $vgpr36
                                        ; implicit-def: $vgpr24
	s_xor_b32 exec_lo, exec_lo, s1
	s_cbranch_execz .LBB0_15
; %bb.12:
	s_add_u32 s6, s16, s6
	s_addc_u32 s7, s17, s7
	v_mul_u32_u24_e32 v5, 0x75, v5
	s_load_dwordx2 s[6:7], s[6:7], 0x0
                                        ; implicit-def: $vgpr39
                                        ; implicit-def: $vgpr37
	v_sub_nc_u32_e32 v59, v0, v5
	v_lshlrev_b64 v[5:6], 3, v[57:58]
	v_mad_u64_u32 v[7:8], null, s20, v59, 0
	v_add_nc_u32_e32 v21, 0x87, v59
	v_add_nc_u32_e32 v23, 0x10e, v59
	;; [unrolled: 1-line block ×5, first 2 shown]
	v_mad_u64_u32 v[9:10], null, s20, v21, 0
	v_mov_b32_e32 v0, v8
	v_mad_u64_u32 v[11:12], null, s20, v23, 0
	s_waitcnt lgkmcnt(0)
	v_mul_lo_u32 v8, s7, v3
	v_mul_lo_u32 v22, s6, v4
	v_mad_u64_u32 v[13:14], null, s6, v3, 0
	v_mad_u64_u32 v[17:18], null, s20, v24, 0
	;; [unrolled: 1-line block ×3, first 2 shown]
	v_mov_b32_e32 v0, v10
	v_mov_b32_e32 v10, v12
	v_add3_u32 v14, v14, v22, v8
	v_mad_u64_u32 v[19:20], null, s20, v25, 0
	v_mov_b32_e32 v12, v18
	v_mad_u64_u32 v[21:22], null, s21, v21, v[0:1]
	v_lshlrev_b64 v[13:14], 3, v[13:14]
	v_mov_b32_e32 v8, v15
	v_mad_u64_u32 v[15:16], null, s21, v23, v[10:11]
	v_mad_u64_u32 v[29:30], null, s20, v35, 0
	v_add_co_u32 v0, s0, s8, v13
	v_mad_u64_u32 v[22:23], null, s21, v24, v[12:13]
	v_add_co_ci_u32_e64 v12, s0, s9, v14, s0
	v_add_co_u32 v0, s0, v0, v5
	v_mov_b32_e32 v10, v21
	v_add_co_ci_u32_e64 v16, s0, v12, v6, s0
	v_mov_b32_e32 v12, v15
	v_lshlrev_b64 v[7:8], 3, v[7:8]
	v_lshlrev_b64 v[5:6], 3, v[9:10]
	v_mov_b32_e32 v9, v20
	v_mov_b32_e32 v18, v22
	v_lshlrev_b64 v[10:11], 3, v[11:12]
	v_add_nc_u32_e32 v21, 0x2a3, v59
	v_add_co_u32 v7, s0, v0, v7
	v_add_co_ci_u32_e64 v8, s0, v16, v8, s0
	v_mad_u64_u32 v[14:15], null, s21, v25, v[9:10]
	v_add_co_u32 v5, s0, v0, v5
	v_lshlrev_b64 v[12:13], 3, v[17:18]
	v_mad_u64_u32 v[17:18], null, s20, v21, 0
	v_add_nc_u32_e32 v23, 0x32a, v59
	v_add_co_ci_u32_e64 v6, s0, v16, v6, s0
	v_add_co_u32 v9, s0, v0, v10
	v_add_co_ci_u32_e64 v10, s0, v16, v11, s0
	v_mov_b32_e32 v20, v14
	v_mad_u64_u32 v[14:15], null, s20, v23, 0
	v_add_co_u32 v11, s0, v0, v12
	v_add_co_ci_u32_e64 v12, s0, v16, v13, s0
	v_mov_b32_e32 v13, v18
	s_clause 0x3
	global_load_dwordx2 v[41:42], v[7:8], off
	global_load_dwordx2 v[49:50], v[5:6], off
	;; [unrolled: 1-line block ×4, first 2 shown]
	v_mov_b32_e32 v7, v15
	v_lshlrev_b64 v[5:6], 3, v[19:20]
	v_add_nc_u32_e32 v19, 0x438, v59
	v_mad_u64_u32 v[21:22], null, s21, v21, v[13:14]
	v_add_nc_u32_e32 v13, 0x3b1, v59
	v_add_nc_u32_e32 v20, 0x4bf, v59
	v_add_co_u32 v5, s0, v0, v5
	v_add_co_ci_u32_e64 v6, s0, v16, v6, s0
	v_mad_u64_u32 v[8:9], null, s20, v13, 0
	v_mov_b32_e32 v18, v21
	s_mov_b32 s6, exec_lo
	v_mad_u64_u32 v[10:11], null, s21, v23, v[7:8]
	v_mov_b32_e32 v7, v9
	v_lshlrev_b64 v[11:12], 3, v[17:18]
	v_mad_u64_u32 v[17:18], null, s20, v19, 0
	v_add_nc_u32_e32 v23, 0x546, v59
	v_mov_b32_e32 v15, v10
	v_mad_u64_u32 v[9:10], null, s21, v13, v[7:8]
	v_add_co_u32 v10, s0, v0, v11
	v_add_co_ci_u32_e64 v11, s0, v16, v12, s0
	v_lshlrev_b64 v[12:13], 3, v[14:15]
	v_mad_u64_u32 v[14:15], null, s20, v20, 0
	v_lshlrev_b64 v[8:9], 3, v[8:9]
	v_mov_b32_e32 v7, v18
	v_mad_u64_u32 v[21:22], null, s20, v23, 0
	v_add_co_u32 v12, s0, v0, v12
	v_add_co_ci_u32_e64 v13, s0, v16, v13, s0
	v_mad_u64_u32 v[18:19], null, s21, v19, v[7:8]
	v_mov_b32_e32 v7, v15
	v_add_co_u32 v8, s0, v0, v8
	v_add_co_ci_u32_e64 v9, s0, v16, v9, s0
	v_mad_u64_u32 v[25:26], null, s21, v20, v[7:8]
	v_add_nc_u32_e32 v26, 0x654, v59
	v_mov_b32_e32 v7, v22
	v_mad_u64_u32 v[31:32], null, s20, v26, 0
	v_mad_u64_u32 v[22:23], null, s21, v23, v[7:8]
	s_clause 0x3
	global_load_dwordx2 v[43:44], v[5:6], off
	global_load_dwordx2 v[27:28], v[10:11], off
	;; [unrolled: 1-line block ×4, first 2 shown]
	v_lshlrev_b64 v[6:7], 3, v[17:18]
	v_mov_b32_e32 v5, v30
	v_mov_b32_e32 v15, v25
                                        ; implicit-def: $vgpr17
                                        ; implicit-def: $vgpr25
	v_mad_u64_u32 v[8:9], null, s21, v35, v[5:6]
	v_mov_b32_e32 v5, v32
	v_add_co_u32 v6, s0, v0, v6
	v_lshlrev_b64 v[9:10], 3, v[14:15]
	v_add_co_ci_u32_e64 v7, s0, v16, v7, s0
	v_mad_u64_u32 v[11:12], null, s21, v26, v[5:6]
	v_lshlrev_b64 v[12:13], 3, v[21:22]
	v_mov_b32_e32 v30, v8
	v_add_co_u32 v8, s0, v0, v9
	v_add_co_ci_u32_e64 v9, s0, v16, v10, s0
	v_mov_b32_e32 v32, v11
	v_lshlrev_b64 v[14:15], 3, v[29:30]
	v_add_co_u32 v10, s0, v0, v12
	v_add_co_ci_u32_e64 v11, s0, v16, v13, s0
	v_lshlrev_b64 v[12:13], 3, v[31:32]
	v_add_co_u32 v14, s0, v0, v14
	v_add_co_ci_u32_e64 v15, s0, v16, v15, s0
                                        ; implicit-def: $vgpr21
                                        ; implicit-def: $vgpr29
                                        ; implicit-def: $vgpr5
                                        ; implicit-def: $vgpr31
	v_add_co_u32 v12, s0, v0, v12
	v_add_co_ci_u32_e64 v13, s0, v16, v13, s0
	s_clause 0x4
	global_load_dwordx2 v[35:36], v[6:7], off
	global_load_dwordx2 v[45:46], v[8:9], off
	;; [unrolled: 1-line block ×5, first 2 shown]
	v_mov_b32_e32 v9, 0
	v_mov_b32_e32 v10, 0
                                        ; implicit-def: $vgpr7
                                        ; implicit-def: $vgpr15
                                        ; implicit-def: $vgpr11
                                        ; implicit-def: $vgpr13
	v_cmpx_gt_u32_e32 18, v59
	s_cbranch_execz .LBB0_14
; %bb.13:
	v_add_nc_u32_e32 v13, 0x75, v59
	v_add_nc_u32_e32 v15, 0xfc, v59
	;; [unrolled: 1-line block ×5, first 2 shown]
	v_mad_u64_u32 v[5:6], null, s20, v13, 0
	v_mad_u64_u32 v[7:8], null, s20, v15, 0
	;; [unrolled: 1-line block ×4, first 2 shown]
	v_add_nc_u32_e32 v39, 0x39f, v59
	v_add_nc_u32_e32 v62, 0x534, v59
	v_mad_u64_u32 v[13:14], null, s21, v13, v[6:7]
	v_mov_b32_e32 v6, v10
	v_mad_u64_u32 v[14:15], null, s21, v15, v[8:9]
	v_mov_b32_e32 v10, v12
	v_add_nc_u32_e32 v15, 0x291, v59
	v_mad_u64_u32 v[17:18], null, s21, v17, v[6:7]
	v_mov_b32_e32 v6, v13
	v_mad_u64_u32 v[12:13], null, s21, v21, v[10:11]
	v_mov_b32_e32 v8, v14
	v_mad_u64_u32 v[21:22], null, s20, v15, 0
	v_lshlrev_b64 v[5:6], 3, v[5:6]
	v_mov_b32_e32 v10, v17
	v_lshlrev_b64 v[7:8], 3, v[7:8]
	v_mad_u64_u32 v[17:18], null, s20, v25, 0
	v_lshlrev_b64 v[11:12], 3, v[11:12]
	v_add_co_u32 v5, s0, v0, v5
	v_mov_b32_e32 v13, v22
	v_lshlrev_b64 v[9:10], 3, v[9:10]
	v_add_co_ci_u32_e64 v6, s0, v16, v6, s0
	v_add_co_u32 v7, s0, v0, v7
	v_add_co_ci_u32_e64 v8, s0, v16, v8, s0
	v_mad_u64_u32 v[13:14], null, s21, v15, v[13:14]
	v_add_co_u32 v14, s0, v0, v9
	v_add_co_ci_u32_e64 v15, s0, v16, v10, s0
	v_mov_b32_e32 v9, v18
	v_add_co_u32 v11, s0, v0, v11
	v_add_co_ci_u32_e64 v12, s0, v16, v12, s0
	v_mov_b32_e32 v22, v13
	v_mad_u64_u32 v[37:38], null, s21, v25, v[9:10]
	s_clause 0x3
	global_load_dwordx2 v[9:10], v[5:6], off
	global_load_dwordx2 v[31:32], v[7:8], off
	;; [unrolled: 1-line block ×4, first 2 shown]
	v_mad_u64_u32 v[29:30], null, s20, v39, 0
	v_add_nc_u32_e32 v38, 0x426, v59
	v_lshlrev_b64 v[5:6], 3, v[21:22]
	v_add_nc_u32_e32 v15, 0x4ad, v59
	v_mov_b32_e32 v18, v37
	v_add_nc_u32_e32 v68, 0x642, v59
	v_mad_u64_u32 v[11:12], null, s20, v38, 0
	v_mov_b32_e32 v7, v30
	v_lshlrev_b64 v[17:18], 3, v[17:18]
	v_add_co_u32 v5, s0, v0, v5
	v_add_co_ci_u32_e64 v6, s0, v16, v6, s0
	v_mad_u64_u32 v[7:8], null, s21, v39, v[7:8]
	v_mov_b32_e32 v8, v12
	v_mad_u64_u32 v[21:22], null, s20, v15, 0
	v_add_co_u32 v37, s0, v0, v17
	v_add_nc_u32_e32 v69, 0x6c9, v59
	v_mov_b32_e32 v30, v7
	s_waitcnt vmcnt(3)
	v_mad_u64_u32 v[7:8], null, s21, v38, v[8:9]
	v_add_co_ci_u32_e64 v38, s0, v16, v18, s0
	v_lshlrev_b64 v[17:18], 3, v[29:30]
	v_mad_u64_u32 v[29:30], null, s20, v62, 0
	v_mov_b32_e32 v12, v7
	v_mov_b32_e32 v7, v22
	v_add_co_u32 v39, s0, v0, v17
	v_add_nc_u32_e32 v17, 0x5bb, v59
	v_lshlrev_b64 v[11:12], 3, v[11:12]
	v_mad_u64_u32 v[7:8], null, s21, v15, v[7:8]
	v_mov_b32_e32 v8, v30
	v_mad_u64_u32 v[57:58], null, s20, v17, 0
	v_add_co_ci_u32_e64 v40, s0, v16, v18, s0
	v_mad_u64_u32 v[62:63], null, s21, v62, v[8:9]
	v_mov_b32_e32 v22, v7
	v_mad_u64_u32 v[63:64], null, s20, v68, 0
	v_mov_b32_e32 v7, v58
	v_add_co_u32 v60, s0, v0, v11
	v_add_co_ci_u32_e64 v61, s0, v16, v12, s0
	v_mad_u64_u32 v[65:66], null, s21, v17, v[7:8]
	v_mad_u64_u32 v[66:67], null, s20, v69, 0
	v_mov_b32_e32 v15, v64
	s_clause 0x3
	global_load_dwordx2 v[17:18], v[5:6], off
	global_load_dwordx2 v[11:12], v[37:38], off
	;; [unrolled: 1-line block ×4, first 2 shown]
	v_mov_b32_e32 v30, v62
	v_lshlrev_b64 v[21:22], 3, v[21:22]
	v_mov_b32_e32 v58, v65
	v_mad_u64_u32 v[37:38], null, s21, v68, v[15:16]
	v_mov_b32_e32 v15, v67
	v_lshlrev_b64 v[29:30], 3, v[29:30]
	v_add_co_u32 v21, s0, v0, v21
	v_add_co_ci_u32_e64 v22, s0, v16, v22, s0
	v_mad_u64_u32 v[38:39], null, s21, v69, v[15:16]
	v_lshlrev_b64 v[39:40], 3, v[57:58]
	v_mov_b32_e32 v64, v37
	v_add_co_u32 v29, s0, v0, v29
	v_add_co_ci_u32_e64 v30, s0, v16, v30, s0
	v_mov_b32_e32 v67, v38
	v_lshlrev_b64 v[57:58], 3, v[63:64]
	v_add_co_u32 v37, s0, v0, v39
	v_add_co_ci_u32_e64 v38, s0, v16, v40, s0
	v_lshlrev_b64 v[39:40], 3, v[66:67]
	v_add_co_u32 v57, s0, v0, v57
	v_add_co_ci_u32_e64 v58, s0, v16, v58, s0
	v_add_co_u32 v60, s0, v0, v39
	v_add_co_ci_u32_e64 v61, s0, v16, v40, s0
	s_clause 0x4
	global_load_dwordx2 v[15:16], v[21:22], off
	global_load_dwordx2 v[21:22], v[29:30], off
	;; [unrolled: 1-line block ×5, first 2 shown]
.LBB0_14:
	s_or_b32 exec_lo, exec_lo, s6
.LBB0_15:
	s_or_b32 exec_lo, exec_lo, s1
	s_waitcnt vmcnt(0)
	v_sub_f32_e32 v57, v50, v54
	v_add_f32_e32 v58, v53, v49
	v_sub_f32_e32 v61, v48, v56
	v_add_f32_e32 v60, v55, v47
	v_add_f32_e32 v0, v41, v49
	v_mul_f32_e32 v62, 0xbeedf032, v57
	v_mul_f32_e32 v63, 0xbf52af12, v57
	;; [unrolled: 1-line block ×8, first 2 shown]
	v_fmamk_f32 v71, v58, 0x3f62ad3f, v62
	v_fma_f32 v62, 0x3f62ad3f, v58, -v62
	v_fmamk_f32 v72, v58, 0x3f116cb1, v63
	v_fma_f32 v63, 0x3f116cb1, v58, -v63
	v_mul_f32_e32 v69, 0xbe750f2a, v61
	v_mul_f32_e32 v70, 0x3f29c268, v61
	v_fmamk_f32 v73, v58, 0x3df6dbef, v64
	v_fma_f32 v64, 0x3df6dbef, v58, -v64
	v_fmamk_f32 v74, v58, 0xbeb58ec6, v65
	v_fma_f32 v65, 0xbeb58ec6, v58, -v65
	;; [unrolled: 2-line block ×6, first 2 shown]
	v_add_f32_e32 v71, v71, v41
	v_add_f32_e32 v62, v62, v41
	;; [unrolled: 1-line block ×14, first 2 shown]
	v_fmamk_f32 v67, v60, 0xbf788fa5, v69
	v_add_f32_e32 v63, v63, v68
	v_fma_f32 v68, 0xbf788fa5, v60, -v69
	v_fmamk_f32 v69, v60, 0xbf3f9e67, v70
	v_fma_f32 v70, 0xbf3f9e67, v60, -v70
	v_mul_f32_e32 v71, 0x3f7e222b, v61
	v_mul_f32_e32 v61, 0x3eedf032, v61
	v_add_f32_e32 v64, v64, v68
	v_add_f32_e32 v68, v74, v69
	v_sub_f32_e32 v69, v34, v52
	v_add_f32_e32 v62, v72, v77
	v_add_f32_e32 v67, v73, v67
	v_add_f32_e32 v65, v65, v70
	v_fmamk_f32 v70, v60, 0x3df6dbef, v71
	v_fma_f32 v71, 0x3df6dbef, v60, -v71
	v_add_f32_e32 v72, v51, v33
	v_mul_f32_e32 v73, 0xbf7e222b, v69
	v_fmamk_f32 v74, v60, 0x3f62ad3f, v61
	v_fma_f32 v60, 0x3f62ad3f, v60, -v61
	v_add_f32_e32 v61, v66, v71
	v_mul_f32_e32 v71, 0xbe750f2a, v69
	v_fmamk_f32 v66, v72, 0x3df6dbef, v73
	v_add_f32_e32 v70, v75, v70
	v_add_f32_e32 v41, v41, v60
	v_fma_f32 v60, 0x3df6dbef, v72, -v73
	v_mul_f32_e32 v73, 0x3f6f5d39, v69
	v_add_f32_e32 v57, v57, v66
	v_fmamk_f32 v66, v72, 0xbf788fa5, v71
	v_fma_f32 v71, 0xbf788fa5, v72, -v71
	v_add_f32_e32 v58, v58, v60
	v_mul_f32_e32 v60, 0x3eedf032, v69
	v_add_f32_e32 v74, v76, v74
	v_add_f32_e32 v62, v62, v66
	v_fmamk_f32 v66, v72, 0xbeb58ec6, v73
	v_add_f32_e32 v63, v63, v71
	v_fma_f32 v71, 0xbeb58ec6, v72, -v73
	v_fmamk_f32 v73, v72, 0x3f62ad3f, v60
	v_fma_f32 v60, 0x3f62ad3f, v72, -v60
	v_add_f32_e32 v66, v67, v66
	v_mul_f32_e32 v67, 0xbf52af12, v69
	v_add_f32_e32 v64, v64, v71
	v_add_f32_e32 v68, v68, v73
	;; [unrolled: 1-line block ×3, first 2 shown]
	v_sub_f32_e32 v65, v44, v46
	v_fmamk_f32 v71, v72, 0x3f116cb1, v67
	v_mul_f32_e32 v69, 0xbf29c268, v69
	v_fma_f32 v67, 0x3f116cb1, v72, -v67
	v_add_f32_e32 v73, v45, v43
	v_mul_f32_e32 v75, 0xbf6f5d39, v65
	v_add_f32_e32 v70, v70, v71
	v_fmamk_f32 v71, v72, 0xbf3f9e67, v69
	v_add_f32_e32 v61, v61, v67
	v_fma_f32 v67, 0xbf3f9e67, v72, -v69
	v_fmamk_f32 v69, v73, 0xbeb58ec6, v75
	v_mul_f32_e32 v72, 0x3f29c268, v65
	v_add_f32_e32 v71, v74, v71
	v_fma_f32 v74, 0xbeb58ec6, v73, -v75
	v_add_f32_e32 v41, v41, v67
	v_add_f32_e32 v57, v57, v69
	v_fmamk_f32 v67, v73, 0xbf3f9e67, v72
	v_mul_f32_e32 v69, 0x3eedf032, v65
	v_add_f32_e32 v58, v58, v74
	v_fma_f32 v72, 0xbf3f9e67, v73, -v72
	v_mul_f32_e32 v74, 0xbf7e222b, v65
	v_add_f32_e32 v62, v62, v67
	v_fmamk_f32 v67, v73, 0x3f62ad3f, v69
	v_fma_f32 v69, 0x3f62ad3f, v73, -v69
	v_add_f32_e32 v63, v63, v72
	v_fmamk_f32 v72, v73, 0x3df6dbef, v74
	v_fma_f32 v74, 0x3df6dbef, v73, -v74
	v_add_f32_e32 v66, v66, v67
	v_add_f32_e32 v64, v64, v69
	v_mul_f32_e32 v67, 0x3e750f2a, v65
	v_sub_f32_e32 v69, v28, v36
	v_add_f32_e32 v68, v68, v72
	v_add_f32_e32 v60, v60, v74
	v_mul_f32_e32 v65, 0x3f52af12, v65
	v_fmamk_f32 v72, v73, 0xbf788fa5, v67
	v_fma_f32 v67, 0xbf788fa5, v73, -v67
	v_add_f32_e32 v74, v35, v27
	v_mul_f32_e32 v75, 0xbf29c268, v69
	v_add_f32_e32 v0, v0, v47
	v_fmamk_f32 v76, v73, 0x3f116cb1, v65
	v_add_f32_e32 v70, v70, v72
	v_add_f32_e32 v61, v61, v67
	v_fma_f32 v65, 0x3f116cb1, v73, -v65
	v_fmamk_f32 v67, v74, 0xbf3f9e67, v75
	v_mul_f32_e32 v72, 0x3f7e222b, v69
	v_fma_f32 v73, 0xbf3f9e67, v74, -v75
	v_add_f32_e32 v0, v0, v33
	v_add_f32_e32 v41, v41, v65
	;; [unrolled: 1-line block ×3, first 2 shown]
	v_mul_f32_e32 v65, 0xbf52af12, v69
	v_fmamk_f32 v67, v74, 0x3df6dbef, v72
	v_add_f32_e32 v58, v58, v73
	v_mul_f32_e32 v73, 0x3e750f2a, v69
	v_add_f32_e32 v0, v0, v43
	v_fma_f32 v72, 0x3df6dbef, v74, -v72
	v_fmamk_f32 v75, v74, 0x3f116cb1, v65
	v_add_f32_e32 v62, v62, v67
	v_fma_f32 v65, 0x3f116cb1, v74, -v65
	v_fmamk_f32 v67, v74, 0xbf788fa5, v73
	v_add_f32_e32 v0, v0, v27
	v_add_f32_e32 v63, v63, v72
	v_fma_f32 v72, 0xbf788fa5, v74, -v73
	v_add_f32_e32 v64, v64, v65
	v_mul_f32_e32 v65, 0x3eedf032, v69
	v_add_f32_e32 v67, v68, v67
	v_mul_f32_e32 v68, 0xbf6f5d39, v69
	v_sub_f32_e32 v69, v20, v24
	v_add_f32_e32 v0, v0, v19
	v_add_f32_e32 v71, v71, v76
	;; [unrolled: 1-line block ×4, first 2 shown]
	v_fmamk_f32 v72, v74, 0x3f62ad3f, v65
	v_fma_f32 v65, 0x3f62ad3f, v74, -v65
	v_fmamk_f32 v73, v74, 0xbeb58ec6, v68
	v_add_f32_e32 v75, v23, v19
	v_mul_f32_e32 v76, 0xbe750f2a, v69
	v_add_f32_e32 v0, v0, v23
	v_add_f32_e32 v70, v70, v72
	v_fma_f32 v68, 0xbeb58ec6, v74, -v68
	v_add_f32_e32 v61, v61, v65
	v_add_f32_e32 v65, v71, v73
	v_fmamk_f32 v71, v75, 0xbf788fa5, v76
	v_mul_f32_e32 v72, 0x3eedf032, v69
	v_add_f32_e32 v0, v35, v0
	v_add_f32_e32 v41, v41, v68
	v_fma_f32 v68, 0xbf788fa5, v75, -v76
	v_mul_f32_e32 v73, 0xbf29c268, v69
	v_add_f32_e32 v71, v57, v71
	v_fmamk_f32 v57, v75, 0x3f62ad3f, v72
	v_add_f32_e32 v0, v45, v0
	v_fma_f32 v72, 0x3f62ad3f, v75, -v72
	v_add_f32_e32 v58, v58, v68
	v_fmamk_f32 v68, v75, 0xbf3f9e67, v73
	v_mul_f32_e32 v74, 0x3f52af12, v69
	v_add_f32_e32 v62, v62, v57
	v_fma_f32 v57, 0xbf3f9e67, v75, -v73
	v_add_f32_e32 v0, v51, v0
	v_add_f32_e32 v63, v63, v72
	;; [unrolled: 1-line block ×3, first 2 shown]
	v_fmamk_f32 v68, v75, 0x3f116cb1, v74
	v_fma_f32 v72, 0x3f116cb1, v75, -v74
	v_mul_f32_e32 v73, 0xbf6f5d39, v69
	v_add_f32_e32 v64, v64, v57
	v_mul_f32_e32 v57, 0x3f7e222b, v69
	v_add_f32_e32 v0, v55, v0
	v_add_f32_e32 v67, v67, v68
	;; [unrolled: 1-line block ×3, first 2 shown]
	v_fmamk_f32 v68, v75, 0xbeb58ec6, v73
	v_fma_f32 v69, 0xbeb58ec6, v75, -v73
	v_fmamk_f32 v72, v75, 0x3df6dbef, v57
	v_fma_f32 v73, 0x3df6dbef, v75, -v57
	v_add_f32_e32 v0, v53, v0
	v_mad_u32_u24 v57, v59, 52, 0
	v_cmp_gt_u32_e64 s0, 18, v59
	v_add_f32_e32 v65, v65, v72
	v_add_f32_e32 v41, v41, v73
	;; [unrolled: 1-line block ×4, first 2 shown]
	ds_write2_b32 v57, v0, v71 offset1:1
	ds_write2_b32 v57, v62, v66 offset0:2 offset1:3
	ds_write2_b32 v57, v67, v68 offset0:4 offset1:5
	;; [unrolled: 1-line block ×5, first 2 shown]
	ds_write_b32 v57, v58 offset:48
	s_and_saveexec_b32 s1, s0
	s_cbranch_execz .LBB0_17
; %bb.16:
	v_add_f32_e32 v0, v31, v37
	v_sub_f32_e32 v41, v32, v38
	v_add_f32_e32 v58, v25, v39
	v_sub_f32_e32 v60, v26, v40
	v_add_f32_e32 v61, v13, v29
	v_mul_f32_e32 v62, 0xbf788fa5, v0
	v_sub_f32_e32 v63, v14, v30
	v_mul_f32_e32 v66, 0x3f62ad3f, v58
	v_add_f32_e32 v64, v17, v21
	v_mul_f32_e32 v70, 0xbf3f9e67, v61
	v_fmamk_f32 v67, v41, 0x3e750f2a, v62
	v_sub_f32_e32 v65, v18, v22
	v_fmamk_f32 v71, v60, 0xbeedf032, v66
	v_add_f32_e32 v68, v11, v15
	v_mul_f32_e32 v74, 0x3f116cb1, v64
	v_add_f32_e32 v67, v9, v67
	v_fmamk_f32 v75, v63, 0x3f29c268, v70
	v_fmac_f32_e32 v62, 0xbe750f2a, v41
	v_sub_f32_e32 v69, v12, v16
	v_fmamk_f32 v76, v65, 0xbf52af12, v74
	v_add_f32_e32 v67, v67, v71
	v_mul_f32_e32 v71, 0xbeb58ec6, v68
	v_fmac_f32_e32 v66, 0x3eedf032, v60
	v_add_f32_e32 v62, v9, v62
	v_fmac_f32_e32 v70, 0xbf29c268, v63
	v_add_f32_e32 v67, v67, v75
	v_mul_f32_e32 v75, 0xbf3f9e67, v0
	v_fmamk_f32 v77, v69, 0x3f6f5d39, v71
	v_add_f32_e32 v62, v62, v66
	v_mul_f32_e32 v78, 0x3df6dbef, v58
	v_add_f32_e32 v67, v67, v76
	v_fmamk_f32 v76, v41, 0x3f29c268, v75
	v_add_f32_e32 v72, v5, v7
	v_add_f32_e32 v62, v62, v70
	v_fmac_f32_e32 v74, 0x3f52af12, v65
	v_add_f32_e32 v67, v67, v77
	v_add_f32_e32 v70, v9, v76
	v_fmamk_f32 v76, v60, 0xbf7e222b, v78
	v_mul_f32_e32 v77, 0x3f116cb1, v61
	v_sub_f32_e32 v73, v6, v8
	v_mul_f32_e32 v66, 0x3df6dbef, v72
	v_add_f32_e32 v62, v62, v74
	v_fmac_f32_e32 v71, 0xbf6f5d39, v69
	v_add_f32_e32 v70, v70, v76
	v_fmamk_f32 v74, v63, 0x3f52af12, v77
	v_mul_f32_e32 v76, 0xbf788fa5, v64
	v_fmamk_f32 v79, v73, 0xbf7e222b, v66
	v_add_f32_e32 v62, v62, v71
	v_fmac_f32_e32 v75, 0xbf29c268, v41
	v_add_f32_e32 v70, v70, v74
	v_fmamk_f32 v71, v65, 0xbe750f2a, v76
	v_mul_f32_e32 v74, 0x3f62ad3f, v68
	v_add_f32_e32 v67, v67, v79
	v_fmac_f32_e32 v66, 0x3f7e222b, v73
	v_add_f32_e32 v75, v9, v75
	v_fmac_f32_e32 v78, 0x3f7e222b, v60
	v_add_f32_e32 v70, v70, v71
	v_fmamk_f32 v71, v69, 0xbeedf032, v74
	v_mul_f32_e32 v79, 0xbeb58ec6, v0
	v_add_f32_e32 v62, v62, v66
	v_add_f32_e32 v66, v75, v78
	v_fmac_f32_e32 v77, 0xbf52af12, v63
	v_add_f32_e32 v70, v70, v71
	v_fmamk_f32 v71, v41, 0x3f6f5d39, v79
	v_mul_f32_e32 v75, 0xbf3f9e67, v58
	v_fmac_f32_e32 v76, 0x3e750f2a, v65
	v_add_f32_e32 v66, v66, v77
	v_mul_f32_e32 v80, 0x3f62ad3f, v61
	v_add_f32_e32 v71, v9, v71
	v_fmamk_f32 v77, v60, 0xbf29c268, v75
	v_mul_f32_e32 v78, 0xbeb58ec6, v72
	v_add_f32_e32 v66, v66, v76
	v_fmac_f32_e32 v74, 0x3eedf032, v69
	v_fmamk_f32 v76, v63, 0xbeedf032, v80
	v_add_f32_e32 v71, v71, v77
	v_mul_f32_e32 v77, 0x3df6dbef, v64
	v_fmamk_f32 v81, v73, 0x3f6f5d39, v78
	v_add_f32_e32 v66, v66, v74
	v_fmac_f32_e32 v79, 0xbf6f5d39, v41
	v_add_f32_e32 v71, v71, v76
	v_fmamk_f32 v74, v65, 0x3f7e222b, v77
	v_mul_f32_e32 v76, 0xbf788fa5, v68
	v_add_f32_e32 v70, v70, v81
	v_fmac_f32_e32 v78, 0xbf6f5d39, v73
	v_add_f32_e32 v79, v9, v79
	v_fmac_f32_e32 v75, 0x3f29c268, v60
	v_add_f32_e32 v71, v71, v74
	v_fmamk_f32 v74, v69, 0xbe750f2a, v76
	v_mul_f32_e32 v81, 0x3df6dbef, v0
	v_add_f32_e32 v66, v66, v78
	v_add_f32_e32 v75, v79, v75
	v_fmac_f32_e32 v80, 0x3eedf032, v63
	v_add_f32_e32 v71, v71, v74
	v_fmamk_f32 v74, v41, 0x3f7e222b, v81
	v_mul_f32_e32 v78, 0xbf788fa5, v58
	v_fmac_f32_e32 v77, 0xbf7e222b, v65
	v_add_f32_e32 v75, v75, v80
	v_mul_f32_e32 v82, 0xbeb58ec6, v61
	v_add_f32_e32 v74, v9, v74
	v_fmamk_f32 v80, v60, 0x3e750f2a, v78
	v_mul_f32_e32 v79, 0x3f116cb1, v72
	v_add_f32_e32 v75, v75, v77
	v_fmac_f32_e32 v76, 0x3e750f2a, v69
	v_fmamk_f32 v77, v63, 0xbf6f5d39, v82
	v_add_f32_e32 v74, v74, v80
	v_mul_f32_e32 v80, 0x3f62ad3f, v64
	v_fmamk_f32 v83, v73, 0xbf52af12, v79
	v_add_f32_e32 v75, v75, v76
	v_fmac_f32_e32 v81, 0xbf7e222b, v41
	v_add_f32_e32 v74, v74, v77
	v_fmamk_f32 v76, v65, 0xbeedf032, v80
	v_mul_f32_e32 v77, 0x3f116cb1, v68
	v_fmac_f32_e32 v79, 0x3f52af12, v73
	v_add_f32_e32 v81, v9, v81
	v_fmac_f32_e32 v78, 0xbe750f2a, v60
	v_add_f32_e32 v74, v74, v76
	v_fmamk_f32 v76, v69, 0x3f52af12, v77
	v_add_f32_e32 v75, v75, v79
	v_mul_f32_e32 v79, 0x3f116cb1, v0
	v_add_f32_e32 v71, v71, v83
	v_add_f32_e32 v78, v81, v78
	v_fmac_f32_e32 v82, 0x3f6f5d39, v63
	v_add_f32_e32 v74, v74, v76
	v_mul_f32_e32 v76, 0xbf3f9e67, v72
	v_fmamk_f32 v81, v41, 0x3f52af12, v79
	v_mul_f32_e32 v83, 0xbeb58ec6, v58
	v_add_f32_e32 v78, v78, v82
	v_fmac_f32_e32 v80, 0x3eedf032, v65
	v_fmamk_f32 v82, v73, 0x3f29c268, v76
	v_add_f32_e32 v81, v9, v81
	v_fmamk_f32 v84, v60, 0x3f6f5d39, v83
	v_mul_f32_e32 v85, 0xbf788fa5, v61
	v_add_f32_e32 v78, v78, v80
	v_fmac_f32_e32 v77, 0xbf52af12, v69
	v_add_f32_e32 v74, v74, v82
	v_add_f32_e32 v80, v81, v84
	v_fmamk_f32 v81, v63, 0x3e750f2a, v85
	v_mul_f32_e32 v82, 0xbf3f9e67, v64
	v_add_f32_e32 v77, v78, v77
	v_fmac_f32_e32 v79, 0xbf52af12, v41
	v_add_f32_e32 v84, v9, v31
	;; [unrolled: 6-line block ×3, first 2 shown]
	v_add_f32_e32 v78, v78, v80
	v_fmamk_f32 v80, v69, 0xbf7e222b, v81
	v_fmac_f32_e32 v85, 0xbe750f2a, v63
	v_add_f32_e32 v79, v79, v83
	v_mul_f32_e32 v0, 0x3f62ad3f, v0
	v_fmac_f32_e32 v82, 0x3f29c268, v65
	v_add_f32_e32 v78, v78, v80
	v_add_f32_e32 v80, v84, v13
	;; [unrolled: 1-line block ×3, first 2 shown]
	v_mul_f32_e32 v58, 0x3f116cb1, v58
	v_fmamk_f32 v84, v41, 0x3eedf032, v0
	v_fmac_f32_e32 v0, 0xbeedf032, v41
	v_add_f32_e32 v80, v80, v17
	v_add_f32_e32 v41, v79, v82
	v_mul_f32_e32 v61, 0x3df6dbef, v61
	v_mul_f32_e32 v64, 0xbeb58ec6, v64
	v_add_f32_e32 v0, v9, v0
	v_add_f32_e32 v79, v80, v11
	v_fmamk_f32 v80, v60, 0x3f52af12, v58
	v_fmac_f32_e32 v58, 0xbf52af12, v60
	v_add_f32_e32 v9, v9, v84
	v_mul_f32_e32 v86, 0x3f62ad3f, v72
	v_add_f32_e32 v60, v79, v5
	v_fmamk_f32 v79, v63, 0x3f7e222b, v61
	v_add_f32_e32 v0, v0, v58
	v_fmac_f32_e32 v61, 0xbf7e222b, v63
	v_add_f32_e32 v9, v9, v80
	v_add_f32_e32 v58, v60, v7
	v_fmamk_f32 v60, v65, 0x3f6f5d39, v64
	v_mul_f32_e32 v63, 0xbf3f9e67, v68
	v_add_f32_e32 v0, v0, v61
	v_fmac_f32_e32 v64, 0xbf6f5d39, v65
	v_add_f32_e32 v58, v15, v58
	v_add_f32_e32 v9, v9, v79
	v_fmamk_f32 v61, v69, 0x3f29c268, v63
	v_mul_f32_e32 v65, 0xbf788fa5, v72
	v_add_f32_e32 v0, v0, v64
	v_add_f32_e32 v58, v21, v58
	v_fmac_f32_e32 v63, 0xbf29c268, v69
	v_fmac_f32_e32 v81, 0x3f7e222b, v69
	v_add_f32_e32 v9, v9, v60
	v_fmamk_f32 v60, v73, 0x3e750f2a, v65
	v_add_f32_e32 v58, v29, v58
	v_add_f32_e32 v0, v0, v63
	v_fmac_f32_e32 v65, 0xbe750f2a, v73
	v_fmac_f32_e32 v76, 0xbf29c268, v73
	v_fmamk_f32 v83, v73, 0xbeedf032, v86
	v_add_f32_e32 v58, v39, v58
	v_add_f32_e32 v41, v41, v81
	v_fmac_f32_e32 v86, 0x3eedf032, v73
	v_add_f32_e32 v9, v9, v61
	v_add_f32_e32 v0, v0, v65
	;; [unrolled: 1-line block ×3, first 2 shown]
	v_add_nc_u32_e32 v61, 0x17c4, v57
	v_add_f32_e32 v63, v77, v76
	v_add_f32_e32 v41, v41, v86
	;; [unrolled: 1-line block ×3, first 2 shown]
	v_add_nc_u32_e32 v60, 0x17dc, v57
	ds_write2_b32 v61, v58, v0 offset1:1
	v_add_nc_u32_e32 v0, 0x17cc, v57
	v_add_nc_u32_e32 v58, 0x17d4, v57
	;; [unrolled: 1-line block ×3, first 2 shown]
	v_add_f32_e32 v64, v78, v83
	v_add_nc_u32_e32 v65, 0x17ec, v57
	ds_write2_b32 v0, v41, v63 offset1:1
	ds_write2_b32 v58, v75, v66 offset1:1
	;; [unrolled: 1-line block ×5, first 2 shown]
	ds_write_b32 v57, v9 offset:6132
.LBB0_17:
	s_or_b32 exec_lo, exec_lo, s1
	v_add_f32_e32 v0, v42, v50
	v_sub_f32_e32 v9, v49, v53
	v_add_f32_e32 v41, v54, v50
	v_sub_f32_e32 v47, v47, v55
	v_add_f32_e32 v49, v56, v48
	v_add_f32_e32 v0, v0, v48
	v_mul_f32_e32 v50, 0xbf52af12, v9
	v_mul_f32_e32 v48, 0xbeedf032, v9
	;; [unrolled: 1-line block ×4, first 2 shown]
	v_add_f32_e32 v0, v0, v34
	v_fma_f32 v65, 0x3f116cb1, v41, -v50
	v_fmac_f32_e32 v50, 0x3f116cb1, v41
	v_mul_f32_e32 v55, 0xbf6f5d39, v9
	v_mul_f32_e32 v58, 0xbf29c268, v9
	v_add_f32_e32 v0, v0, v44
	v_mul_f32_e32 v9, 0xbe750f2a, v9
	v_mul_f32_e32 v60, 0xbf52af12, v47
	v_fma_f32 v64, 0x3f62ad3f, v41, -v48
	v_fmac_f32_e32 v48, 0x3f62ad3f, v41
	v_add_f32_e32 v0, v0, v28
	v_fma_f32 v70, 0xbeb58ec6, v49, -v61
	v_fmac_f32_e32 v61, 0xbeb58ec6, v49
	v_add_f32_e32 v50, v50, v42
	v_mul_f32_e32 v62, 0xbe750f2a, v47
	v_add_f32_e32 v0, v0, v20
	v_fma_f32 v66, 0x3df6dbef, v41, -v53
	v_fmac_f32_e32 v53, 0x3df6dbef, v41
	v_fma_f32 v67, 0xbeb58ec6, v41, -v55
	v_fmac_f32_e32 v55, 0xbeb58ec6, v41
	v_add_f32_e32 v0, v0, v24
	v_fma_f32 v68, 0xbf3f9e67, v41, -v58
	v_fmac_f32_e32 v58, 0xbf3f9e67, v41
	v_fma_f32 v69, 0xbf788fa5, v41, -v9
	v_fmac_f32_e32 v9, 0xbf788fa5, v41
	v_add_f32_e32 v0, v36, v0
	v_fma_f32 v41, 0x3f116cb1, v49, -v60
	v_fmac_f32_e32 v60, 0x3f116cb1, v49
	v_add_f32_e32 v48, v48, v42
	v_add_f32_e32 v50, v50, v61
	;; [unrolled: 1-line block ×3, first 2 shown]
	v_mul_f32_e32 v61, 0x3f7e222b, v47
	v_sub_f32_e32 v33, v33, v51
	v_mul_f32_e32 v63, 0x3f29c268, v47
	v_add_f32_e32 v64, v64, v42
	v_add_f32_e32 v0, v52, v0
	;; [unrolled: 1-line block ×13, first 2 shown]
	v_fma_f32 v48, 0xbf788fa5, v49, -v62
	v_fmac_f32_e32 v62, 0xbf788fa5, v49
	v_fma_f32 v51, 0x3df6dbef, v49, -v61
	v_mul_f32_e32 v47, 0x3eedf032, v47
	v_fmac_f32_e32 v61, 0x3df6dbef, v49
	v_add_f32_e32 v34, v52, v34
	v_mul_f32_e32 v52, 0xbf7e222b, v33
	v_add_f32_e32 v41, v64, v41
	v_fma_f32 v60, 0xbf3f9e67, v49, -v63
	v_fmac_f32_e32 v63, 0xbf3f9e67, v49
	v_add_f32_e32 v53, v53, v62
	v_fma_f32 v62, 0x3f62ad3f, v49, -v47
	v_fmac_f32_e32 v47, 0x3f62ad3f, v49
	v_add_f32_e32 v49, v58, v61
	v_fma_f32 v58, 0x3df6dbef, v34, -v52
	v_mul_f32_e32 v61, 0xbe750f2a, v33
	v_add_f32_e32 v54, v54, v0
	v_add_f32_e32 v0, v65, v70
	;; [unrolled: 1-line block ×4, first 2 shown]
	v_fma_f32 v47, 0xbf788fa5, v34, -v61
	v_mul_f32_e32 v58, 0x3f6f5d39, v33
	v_add_f32_e32 v48, v66, v48
	v_fmac_f32_e32 v52, 0x3df6dbef, v34
	v_sub_f32_e32 v43, v43, v45
	v_add_f32_e32 v0, v0, v47
	v_fma_f32 v47, 0xbeb58ec6, v34, -v58
	v_add_f32_e32 v51, v68, v51
	v_fmac_f32_e32 v61, 0xbf788fa5, v34
	v_add_f32_e32 v42, v42, v52
	v_mul_f32_e32 v52, 0x3eedf032, v33
	v_add_f32_e32 v47, v48, v47
	v_mul_f32_e32 v48, 0xbf52af12, v33
	v_mul_f32_e32 v33, 0xbf29c268, v33
	v_add_f32_e32 v44, v46, v44
	v_mul_f32_e32 v46, 0xbf6f5d39, v43
	v_add_f32_e32 v50, v50, v61
	v_fma_f32 v45, 0x3f116cb1, v34, -v48
	v_fmac_f32_e32 v48, 0x3f116cb1, v34
	v_fmac_f32_e32 v58, 0xbeb58ec6, v34
	v_fma_f32 v61, 0x3f62ad3f, v34, -v52
	v_fmac_f32_e32 v52, 0x3f62ad3f, v34
	v_add_f32_e32 v45, v51, v45
	v_fma_f32 v51, 0xbf3f9e67, v34, -v33
	v_fmac_f32_e32 v33, 0xbf3f9e67, v34
	v_add_f32_e32 v34, v49, v48
	v_fma_f32 v48, 0xbeb58ec6, v44, -v46
	v_mul_f32_e32 v49, 0x3f29c268, v43
	v_fmac_f32_e32 v46, 0xbeb58ec6, v44
	v_add_f32_e32 v9, v9, v33
	v_sub_f32_e32 v27, v27, v35
	v_add_f32_e32 v33, v41, v48
	v_fma_f32 v41, 0xbf3f9e67, v44, -v49
	v_mul_f32_e32 v48, 0x3eedf032, v43
	v_fmac_f32_e32 v49, 0xbf3f9e67, v44
	v_add_f32_e32 v42, v42, v46
	v_mul_f32_e32 v46, 0xbf7e222b, v43
	v_add_f32_e32 v0, v0, v41
	v_fma_f32 v41, 0x3f62ad3f, v44, -v48
	v_add_f32_e32 v28, v36, v28
	v_mul_f32_e32 v36, 0xbf29c268, v27
	v_add_f32_e32 v49, v50, v49
	v_fmac_f32_e32 v48, 0x3f62ad3f, v44
	v_add_f32_e32 v41, v47, v41
	v_mul_f32_e32 v47, 0x3e750f2a, v43
	v_mul_f32_e32 v43, 0x3f52af12, v43
	v_fma_f32 v50, 0x3df6dbef, v44, -v46
	v_fmac_f32_e32 v46, 0x3df6dbef, v44
	v_add_f32_e32 v56, v56, v62
	v_fma_f32 v35, 0xbf788fa5, v44, -v47
	v_fmac_f32_e32 v47, 0xbf788fa5, v44
	v_add_f32_e32 v53, v53, v58
	v_sub_f32_e32 v19, v19, v23
	v_add_f32_e32 v51, v56, v51
	v_add_f32_e32 v35, v45, v35
	v_fma_f32 v45, 0x3f116cb1, v44, -v43
	v_add_f32_e32 v34, v34, v47
	v_fmac_f32_e32 v43, 0x3f116cb1, v44
	v_fma_f32 v44, 0xbf3f9e67, v28, -v36
	v_mul_f32_e32 v47, 0x3f7e222b, v27
	v_mul_f32_e32 v23, 0xbf6f5d39, v27
	v_add_f32_e32 v48, v53, v48
	v_add_f32_e32 v9, v9, v43
	;; [unrolled: 1-line block ×3, first 2 shown]
	v_fma_f32 v43, 0x3df6dbef, v28, -v47
	v_mul_f32_e32 v44, 0xbf52af12, v27
	v_add_f32_e32 v60, v67, v60
	v_add_f32_e32 v45, v51, v45
	v_fmac_f32_e32 v36, 0xbf3f9e67, v28
	v_add_f32_e32 v0, v0, v43
	v_fma_f32 v43, 0x3f116cb1, v28, -v44
	v_fmac_f32_e32 v44, 0x3f116cb1, v28
	v_add_f32_e32 v53, v24, v20
	v_fma_f32 v24, 0xbeb58ec6, v28, -v23
	v_add_f32_e32 v58, v60, v61
	v_add_f32_e32 v41, v41, v43
	;; [unrolled: 1-line block ×3, first 2 shown]
	v_mul_f32_e32 v44, 0x3eedf032, v27
	v_add_f32_e32 v36, v42, v36
	v_fmac_f32_e32 v47, 0x3df6dbef, v28
	v_mul_f32_e32 v42, 0x3e750f2a, v27
	v_fmac_f32_e32 v23, 0xbeb58ec6, v28
	v_add_f32_e32 v45, v45, v24
	v_mul_f32_e32 v24, 0x3eedf032, v19
	v_add_f32_e32 v55, v55, v63
	v_fma_f32 v27, 0x3f62ad3f, v28, -v44
	v_mul_f32_e32 v20, 0xbe750f2a, v19
	v_add_f32_e32 v50, v58, v50
	v_add_f32_e32 v47, v49, v47
	v_fma_f32 v49, 0xbf788fa5, v28, -v42
	v_add_f32_e32 v58, v9, v23
	v_fma_f32 v23, 0x3f62ad3f, v53, -v24
	v_mul_f32_e32 v62, 0x3f52af12, v19
	v_add_f32_e32 v52, v55, v52
	v_add_f32_e32 v55, v35, v27
	v_fma_f32 v27, 0xbf788fa5, v53, -v20
	v_fmac_f32_e32 v20, 0xbf788fa5, v53
	v_mul_f32_e32 v9, 0xbf29c268, v19
	v_add_f32_e32 v48, v50, v49
	v_add_f32_e32 v63, v0, v23
	v_fma_f32 v23, 0x3f116cb1, v53, -v62
	v_mad_i32_i24 v0, 0xffffffd0, v59, v57
	v_add_f32_e32 v46, v52, v46
	v_fmac_f32_e32 v42, 0xbf788fa5, v28
	v_add_f32_e32 v61, v36, v20
	v_fma_f32 v20, 0xbf3f9e67, v53, -v9
	v_fmac_f32_e32 v9, 0xbf3f9e67, v53
	v_fmac_f32_e32 v24, 0x3f62ad3f, v53
	;; [unrolled: 1-line block ×3, first 2 shown]
	v_add_f32_e32 v68, v48, v23
	v_add_nc_u32_e32 v48, 0x1200, v0
	v_add_f32_e32 v52, v46, v42
	v_add_f32_e32 v67, v43, v9
	v_add_nc_u32_e32 v46, 0x600, v0
	v_add_nc_u32_e32 v9, 0xa00, v0
	v_add_f32_e32 v64, v47, v24
	v_add_nc_u32_e32 v47, 0x200, v0
	v_add_nc_u32_e32 v49, 0x1400, v0
	;; [unrolled: 1-line block ×3, first 2 shown]
	v_add_f32_e32 v56, v34, v44
	v_add_f32_e32 v60, v33, v27
	;; [unrolled: 1-line block ×3, first 2 shown]
	v_mul_f32_e32 v66, 0xbf6f5d39, v19
	v_mul_f32_e32 v70, 0x3f7e222b, v19
	s_waitcnt lgkmcnt(0)
	s_barrier
	buffer_gl0_inv
	ds_read2_b32 v[23:24], v0 offset1:117
	ds_read2_b32 v[19:20], v46 offset0:84 offset1:201
	ds_read2_b32 v[43:44], v48 offset0:18 offset1:135
	;; [unrolled: 1-line block ×6, first 2 shown]
	ds_read_b32 v51, v0 offset:6552
	v_fma_f32 v69, 0xbeb58ec6, v53, -v66
	v_fmac_f32_e32 v66, 0xbeb58ec6, v53
	v_fma_f32 v71, 0x3df6dbef, v53, -v70
	v_fmac_f32_e32 v70, 0x3df6dbef, v53
	v_fmac_f32_e32 v62, 0x3f116cb1, v53
	v_add_f32_e32 v53, v55, v69
	v_add_f32_e32 v55, v56, v66
	;; [unrolled: 1-line block ×3, first 2 shown]
	v_add_nc_u32_e32 v45, 0x75, v59
	v_add_f32_e32 v58, v58, v70
	v_add_f32_e32 v52, v52, v62
	s_waitcnt lgkmcnt(0)
	s_barrier
	buffer_gl0_inv
	ds_write2_b32 v57, v54, v60 offset1:1
	ds_write2_b32 v57, v63, v65 offset0:2 offset1:3
	ds_write2_b32 v57, v68, v53 offset0:4 offset1:5
	;; [unrolled: 1-line block ×5, first 2 shown]
	ds_write_b32 v57, v61 offset:48
	s_and_saveexec_b32 s1, s0
	s_cbranch_execz .LBB0_19
; %bb.18:
	v_add_f32_e32 v52, v10, v32
	v_sub_f32_e32 v31, v31, v37
	v_add_f32_e32 v37, v26, v40
	v_add_f32_e32 v32, v32, v38
	v_sub_f32_e32 v25, v25, v39
	v_add_f32_e32 v26, v52, v26
	v_mul_f32_e32 v52, 0xbf52af12, v31
	v_mul_f32_e32 v39, 0xbeedf032, v31
	;; [unrolled: 1-line block ×4, first 2 shown]
	v_add_f32_e32 v26, v26, v14
	v_fma_f32 v62, 0x3f116cb1, v32, -v52
	v_fmac_f32_e32 v52, 0x3f116cb1, v32
	v_mul_f32_e32 v54, 0xbf6f5d39, v31
	v_mul_f32_e32 v55, 0xbf29c268, v31
	v_add_f32_e32 v26, v26, v18
	v_mul_f32_e32 v31, 0xbe750f2a, v31
	v_mul_f32_e32 v56, 0xbf52af12, v25
	v_fma_f32 v61, 0x3f62ad3f, v32, -v39
	v_fmac_f32_e32 v39, 0x3f62ad3f, v32
	v_add_f32_e32 v26, v26, v12
	v_fma_f32 v67, 0xbeb58ec6, v37, -v57
	v_fmac_f32_e32 v57, 0xbeb58ec6, v37
	v_add_f32_e32 v52, v10, v52
	v_mul_f32_e32 v58, 0xbe750f2a, v25
	v_add_f32_e32 v26, v26, v6
	v_fma_f32 v63, 0x3df6dbef, v32, -v53
	v_fmac_f32_e32 v53, 0x3df6dbef, v32
	v_fma_f32 v64, 0xbeb58ec6, v32, -v54
	v_fmac_f32_e32 v54, 0xbeb58ec6, v32
	v_add_f32_e32 v26, v26, v8
	v_fma_f32 v65, 0xbf3f9e67, v32, -v55
	v_fmac_f32_e32 v55, 0xbf3f9e67, v32
	v_fma_f32 v66, 0xbf788fa5, v32, -v31
	v_fmac_f32_e32 v31, 0xbf788fa5, v32
	v_add_f32_e32 v26, v16, v26
	v_fma_f32 v32, 0x3f116cb1, v37, -v56
	v_fmac_f32_e32 v56, 0x3f116cb1, v37
	v_add_f32_e32 v61, v10, v61
	v_add_f32_e32 v39, v10, v39
	;; [unrolled: 1-line block ×4, first 2 shown]
	v_mul_f32_e32 v57, 0x3f7e222b, v25
	v_sub_f32_e32 v13, v13, v29
	v_mul_f32_e32 v60, 0x3f29c268, v25
	v_add_f32_e32 v26, v30, v26
	v_add_f32_e32 v62, v10, v62
	;; [unrolled: 1-line block ×13, first 2 shown]
	v_fma_f32 v39, 0xbf788fa5, v37, -v58
	v_fmac_f32_e32 v58, 0xbf788fa5, v37
	v_fma_f32 v29, 0x3df6dbef, v37, -v57
	v_mul_f32_e32 v25, 0x3eedf032, v25
	v_fmac_f32_e32 v57, 0x3df6dbef, v37
	v_add_f32_e32 v14, v14, v30
	v_mul_f32_e32 v30, 0xbf7e222b, v13
	v_fma_f32 v56, 0xbf3f9e67, v37, -v60
	v_fmac_f32_e32 v60, 0xbf3f9e67, v37
	v_add_f32_e32 v53, v53, v58
	v_fma_f32 v58, 0x3f62ad3f, v37, -v25
	v_fmac_f32_e32 v25, 0x3f62ad3f, v37
	v_add_f32_e32 v37, v55, v57
	v_fma_f32 v55, 0x3df6dbef, v14, -v30
	v_mul_f32_e32 v57, 0xbe750f2a, v13
	v_add_f32_e32 v26, v38, v26
	v_add_f32_e32 v38, v62, v67
	;; [unrolled: 1-line block ×4, first 2 shown]
	v_fma_f32 v31, 0xbf788fa5, v14, -v57
	v_mul_f32_e32 v55, 0x3f6f5d39, v13
	v_add_f32_e32 v39, v63, v39
	v_fmac_f32_e32 v30, 0x3df6dbef, v14
	v_sub_f32_e32 v17, v17, v21
	v_add_f32_e32 v31, v38, v31
	v_fma_f32 v38, 0xbeb58ec6, v14, -v55
	v_add_f32_e32 v29, v65, v29
	v_fmac_f32_e32 v57, 0xbf788fa5, v14
	v_add_f32_e32 v30, v32, v30
	v_mul_f32_e32 v32, 0x3eedf032, v13
	v_add_f32_e32 v38, v39, v38
	v_mul_f32_e32 v39, 0xbf52af12, v13
	v_mul_f32_e32 v13, 0xbf29c268, v13
	v_add_f32_e32 v18, v18, v22
	v_mul_f32_e32 v22, 0xbf6f5d39, v17
	v_add_f32_e32 v52, v52, v57
	v_fma_f32 v21, 0x3f116cb1, v14, -v39
	v_fmac_f32_e32 v39, 0x3f116cb1, v14
	v_fmac_f32_e32 v55, 0xbeb58ec6, v14
	v_fma_f32 v57, 0x3f62ad3f, v14, -v32
	v_fmac_f32_e32 v32, 0x3f62ad3f, v14
	v_add_f32_e32 v21, v29, v21
	v_fma_f32 v29, 0xbf3f9e67, v14, -v13
	v_add_f32_e32 v37, v37, v39
	v_fmac_f32_e32 v13, 0xbf3f9e67, v14
	v_fma_f32 v14, 0xbeb58ec6, v18, -v22
	v_mul_f32_e32 v39, 0x3f29c268, v17
	v_fmac_f32_e32 v22, 0xbeb58ec6, v18
	v_add_f32_e32 v54, v54, v60
	v_add_f32_e32 v40, v40, v58
	;; [unrolled: 1-line block ×4, first 2 shown]
	v_fma_f32 v14, 0xbf3f9e67, v18, -v39
	v_mul_f32_e32 v25, 0x3eedf032, v17
	v_add_f32_e32 v22, v30, v22
	v_mul_f32_e32 v30, 0xbf7e222b, v17
	v_add_f32_e32 v32, v54, v32
	v_add_f32_e32 v29, v40, v29
	;; [unrolled: 1-line block ×3, first 2 shown]
	v_fma_f32 v31, 0x3f62ad3f, v18, -v25
	v_fma_f32 v40, 0x3df6dbef, v18, -v30
	v_fmac_f32_e32 v30, 0x3df6dbef, v18
	v_sub_f32_e32 v11, v11, v15
	v_mul_f32_e32 v15, 0x3f52af12, v17
	v_add_f32_e32 v31, v38, v31
	v_mul_f32_e32 v38, 0x3e750f2a, v17
	v_add_f32_e32 v30, v32, v30
	v_add_f32_e32 v12, v12, v16
	v_mul_f32_e32 v16, 0xbf29c268, v11
	v_fma_f32 v32, 0x3f116cb1, v18, -v15
	v_fmac_f32_e32 v15, 0x3f116cb1, v18
	v_add_f32_e32 v53, v53, v55
	v_fmac_f32_e32 v39, 0xbf3f9e67, v18
	v_fmac_f32_e32 v25, 0x3f62ad3f, v18
	v_fma_f32 v17, 0xbf788fa5, v18, -v38
	v_fmac_f32_e32 v38, 0xbf788fa5, v18
	v_fma_f32 v18, 0xbf3f9e67, v12, -v16
	v_add_f32_e32 v29, v29, v32
	v_mul_f32_e32 v32, 0x3f7e222b, v11
	v_fmac_f32_e32 v16, 0xbf3f9e67, v12
	v_add_f32_e32 v10, v10, v15
	v_mul_f32_e32 v15, 0xbf52af12, v11
	v_add_f32_e32 v39, v52, v39
	v_add_f32_e32 v25, v53, v25
	;; [unrolled: 1-line block ×5, first 2 shown]
	v_fma_f32 v18, 0x3df6dbef, v12, -v32
	v_add_f32_e32 v16, v22, v16
	v_fmac_f32_e32 v32, 0x3df6dbef, v12
	v_mul_f32_e32 v22, 0x3e750f2a, v11
	v_fma_f32 v37, 0x3f116cb1, v12, -v15
	v_fmac_f32_e32 v15, 0x3f116cb1, v12
	v_add_f32_e32 v14, v14, v18
	v_add_f32_e32 v18, v39, v32
	v_fma_f32 v32, 0xbf788fa5, v12, -v22
	v_fmac_f32_e32 v22, 0xbf788fa5, v12
	v_add_f32_e32 v15, v25, v15
	v_mul_f32_e32 v25, 0x3eedf032, v11
	v_mul_f32_e32 v11, 0xbf6f5d39, v11
	v_sub_f32_e32 v5, v5, v7
	v_add_f32_e32 v22, v30, v22
	v_add_f32_e32 v6, v6, v8
	v_fma_f32 v7, 0x3f62ad3f, v12, -v25
	v_fmac_f32_e32 v25, 0x3f62ad3f, v12
	v_fma_f32 v30, 0xbeb58ec6, v12, -v11
	v_mul_f32_e32 v8, 0xbe750f2a, v5
	v_fmac_f32_e32 v11, 0xbeb58ec6, v12
	v_add_f32_e32 v56, v64, v56
	v_add_f32_e32 v12, v21, v25
	v_mul_f32_e32 v25, 0x3eedf032, v5
	v_fma_f32 v21, 0xbf788fa5, v6, -v8
	v_add_f32_e32 v10, v10, v11
	v_mul_f32_e32 v11, 0xbf29c268, v5
	v_fmac_f32_e32 v8, 0xbf788fa5, v6
	v_add_f32_e32 v55, v56, v57
	v_add_f32_e32 v31, v31, v37
	;; [unrolled: 1-line block ×5, first 2 shown]
	v_fma_f32 v21, 0x3f62ad3f, v6, -v25
	v_fmac_f32_e32 v25, 0x3f62ad3f, v6
	v_fma_f32 v29, 0xbf3f9e67, v6, -v11
	v_add_f32_e32 v8, v16, v8
	v_mul_f32_e32 v16, 0x3f52af12, v5
	v_add_f32_e32 v40, v55, v40
	v_add_f32_e32 v14, v14, v21
	;; [unrolled: 1-line block ×4, first 2 shown]
	v_fma_f32 v25, 0x3f116cb1, v6, -v16
	v_fmac_f32_e32 v16, 0x3f116cb1, v6
	v_mul_f32_e32 v29, 0xbf6f5d39, v5
	v_add_f32_e32 v32, v40, v32
	v_fmac_f32_e32 v11, 0xbf3f9e67, v6
	v_mul_f32_e32 v5, 0x3f7e222b, v5
	v_add_f32_e32 v16, v22, v16
	v_fma_f32 v22, 0xbeb58ec6, v6, -v29
	v_fmac_f32_e32 v29, 0xbeb58ec6, v6
	v_add_f32_e32 v11, v15, v11
	v_add_f32_e32 v15, v32, v25
	v_fma_f32 v25, 0x3df6dbef, v6, -v5
	v_fmac_f32_e32 v5, 0x3df6dbef, v6
	v_mad_u32_u24 v6, v45, 52, 0
	v_add_f32_e32 v7, v7, v22
	v_add_f32_e32 v17, v17, v25
	;; [unrolled: 1-line block ×4, first 2 shown]
	ds_write2_b32 v6, v26, v13 offset1:1
	ds_write2_b32 v6, v14, v21 offset0:2 offset1:3
	ds_write2_b32 v6, v15, v7 offset0:4 offset1:5
	;; [unrolled: 1-line block ×5, first 2 shown]
	ds_write_b32 v6, v8 offset:48
.LBB0_19:
	s_or_b32 exec_lo, exec_lo, s1
	v_and_b32_e32 v6, 0xff, v59
	v_and_b32_e32 v22, 0xff, v45
	v_add_nc_u32_e32 v21, 0xea, v59
	v_mov_b32_e32 v10, 0x4ec5
	v_add_nc_u32_e32 v8, 0x15f, v59
	v_mul_lo_u16 v5, 0x4f, v6
	v_mul_lo_u16 v11, 0x4f, v22
	v_add_nc_u32_e32 v7, 0x1d4, v59
	v_mul_u32_u24_sdwa v12, v21, v10 dst_sel:DWORD dst_unused:UNUSED_PAD src0_sel:WORD_0 src1_sel:DWORD
	s_waitcnt lgkmcnt(0)
	v_lshrrev_b16 v58, 10, v5
	v_lshrrev_b16 v70, 10, v11
	v_mov_b32_e32 v5, 4
	v_lshrrev_b32_e32 v71, 18, v12
	s_barrier
	v_mul_lo_u16 v11, v58, 13
	v_mul_lo_u16 v12, v70, 13
	buffer_gl0_inv
	v_mul_lo_u16 v13, v71, 13
	v_mov_b32_e32 v80, 0xa41b
	v_sub_nc_u16 v72, v59, v11
	v_mul_u32_u24_sdwa v11, v8, v10 dst_sel:DWORD dst_unused:UNUSED_PAD src0_sel:WORD_0 src1_sel:DWORD
	v_mul_u32_u24_sdwa v10, v7, v10 dst_sel:DWORD dst_unused:UNUSED_PAD src0_sel:WORD_0 src1_sel:DWORD
	v_sub_nc_u16 v73, v45, v12
	v_sub_nc_u16 v76, v21, v13
	v_lshlrev_b32_sdwa v12, v5, v72 dst_sel:DWORD dst_unused:UNUSED_PAD src0_sel:DWORD src1_sel:BYTE_0
	v_lshrrev_b32_e32 v74, 18, v11
	v_lshrrev_b32_e32 v75, 18, v10
	v_lshlrev_b32_sdwa v10, v5, v73 dst_sel:DWORD dst_unused:UNUSED_PAD src0_sel:DWORD src1_sel:BYTE_0
	v_lshlrev_b32_sdwa v26, v5, v76 dst_sel:DWORD dst_unused:UNUSED_PAD src0_sel:DWORD src1_sel:WORD_0
	global_load_dwordx4 v[11:14], v12, s[12:13]
	v_mul_lo_u16 v25, v74, 13
	v_mul_lo_u16 v22, 0xa5, v22
	global_load_dwordx4 v[15:18], v10, s[12:13]
	v_mul_lo_u16 v10, v75, 13
	global_load_dwordx4 v[29:32], v26, s[12:13]
	v_sub_nc_u16 v77, v8, v25
	v_mul_u32_u24_sdwa v82, v21, v80 dst_sel:DWORD dst_unused:UNUSED_PAD src0_sel:WORD_0 src1_sel:DWORD
	v_mul_u32_u24_sdwa v83, v8, v80 dst_sel:DWORD dst_unused:UNUSED_PAD src0_sel:WORD_0 src1_sel:DWORD
	v_sub_nc_u16 v78, v7, v10
	v_mul_u32_u24_sdwa v80, v7, v80 dst_sel:DWORD dst_unused:UNUSED_PAD src0_sel:WORD_0 src1_sel:DWORD
	v_lshlrev_b32_sdwa v10, v5, v77 dst_sel:DWORD dst_unused:UNUSED_PAD src0_sel:DWORD src1_sel:WORD_0
	v_lshrrev_b16 v22, 8, v22
	v_mul_lo_u16 v6, 0xa5, v6
	v_lshlrev_b32_sdwa v25, v5, v78 dst_sel:DWORD dst_unused:UNUSED_PAD src0_sel:DWORD src1_sel:WORD_0
	s_clause 0x1
	global_load_dwordx4 v[37:40], v10, s[12:13]
	global_load_dwordx4 v[52:55], v25, s[12:13]
	ds_read2_b32 v[25:26], v0 offset1:117
	ds_read2_b32 v[56:57], v46 offset0:84 offset1:201
	ds_read2_b32 v[60:61], v48 offset0:18 offset1:135
	;; [unrolled: 1-line block ×6, first 2 shown]
	ds_read_b32 v79, v0 offset:6552
	v_lshrrev_b32_e32 v82, 16, v82
	v_lshrrev_b32_e32 v80, 16, v80
	v_sub_nc_u16 v84, v45, v22
	v_mov_b32_e32 v81, 0x9c
	v_lshrrev_b16 v6, 8, v6
	v_lshrrev_b32_e32 v83, 16, v83
	v_sub_nc_u16 v85, v21, v82
	v_sub_nc_u16 v87, v7, v80
	v_lshrrev_b16 v84, 1, v84
	v_mul_u32_u24_sdwa v58, v58, v81 dst_sel:DWORD dst_unused:UNUSED_PAD src0_sel:WORD_0 src1_sel:DWORD
	v_mul_u32_u24_sdwa v70, v70, v81 dst_sel:DWORD dst_unused:UNUSED_PAD src0_sel:WORD_0 src1_sel:DWORD
	v_sub_nc_u16 v81, v59, v6
	v_sub_nc_u16 v86, v8, v83
	v_lshrrev_b16 v85, 1, v85
	v_lshrrev_b16 v87, 1, v87
	v_and_b32_e32 v84, 0x7f, v84
	v_lshrrev_b16 v81, 1, v81
	v_lshrrev_b16 v86, 1, v86
	v_add_nc_u16 v82, v85, v82
	v_add_nc_u16 v80, v87, v80
	;; [unrolled: 1-line block ×3, first 2 shown]
	v_and_b32_e32 v81, 0x7f, v81
	v_add_nc_u16 v83, v86, v83
	v_mov_b32_e32 v10, 2
	v_mul_u32_u24_e32 v71, 0x9c, v71
	v_lshrrev_b16 v22, 5, v22
	v_add_nc_u16 v6, v81, v6
	v_mul_u32_u24_e32 v74, 0x9c, v74
	v_lshlrev_b32_sdwa v72, v10, v72 dst_sel:DWORD dst_unused:UNUSED_PAD src0_sel:DWORD src1_sel:BYTE_0
	v_lshlrev_b32_sdwa v73, v10, v73 dst_sel:DWORD dst_unused:UNUSED_PAD src0_sel:DWORD src1_sel:BYTE_0
	v_lshlrev_b32_sdwa v76, v10, v76 dst_sel:DWORD dst_unused:UNUSED_PAD src0_sel:DWORD src1_sel:WORD_0
	v_lshrrev_b16 v6, 5, v6
	v_lshlrev_b32_sdwa v77, v10, v77 dst_sel:DWORD dst_unused:UNUSED_PAD src0_sel:DWORD src1_sel:WORD_0
	v_add3_u32 v58, 0, v58, v72
	v_add3_u32 v70, 0, v70, v73
	v_and_b32_e32 v73, 7, v22
	v_and_b32_e32 v72, 7, v6
	v_mul_u32_u24_e32 v75, 0x9c, v75
	v_lshlrev_b32_sdwa v78, v10, v78 dst_sel:DWORD dst_unused:UNUSED_PAD src0_sel:DWORD src1_sel:WORD_0
	v_add3_u32 v6, 0, v71, v76
	v_add3_u32 v22, 0, v74, v77
	v_lshrrev_b16 v71, 5, v82
	v_lshrrev_b16 v77, 5, v83
	v_mul_lo_u16 v74, v72, 39
	v_lshrrev_b16 v80, 5, v80
	v_mul_lo_u16 v76, v73, 39
	v_add3_u32 v75, 0, v75, v78
	v_mul_lo_u16 v78, v71, 39
	v_mul_lo_u16 v81, v77, 39
	s_waitcnt vmcnt(0) lgkmcnt(0)
	s_barrier
	buffer_gl0_inv
	v_sub_nc_u16 v74, v59, v74
	v_sub_nc_u16 v76, v45, v76
	;; [unrolled: 1-line block ×3, first 2 shown]
	v_lshlrev_b32_sdwa v82, v5, v74 dst_sel:DWORD dst_unused:UNUSED_PAD src0_sel:DWORD src1_sel:BYTE_0
	v_lshlrev_b32_sdwa v83, v5, v76 dst_sel:DWORD dst_unused:UNUSED_PAD src0_sel:DWORD src1_sel:BYTE_0
	v_mul_f32_e32 v84, v57, v12
	v_mul_f32_e32 v12, v20, v12
	;; [unrolled: 1-line block ×12, first 2 shown]
	v_fmac_f32_e32 v84, v20, v11
	v_fma_f32 v11, v57, v11, -v12
	v_fmac_f32_e32 v85, v43, v13
	v_fma_f32 v12, v60, v13, -v14
	v_fmac_f32_e32 v87, v44, v17
	v_mul_f32_e32 v13, v68, v38
	v_mul_f32_e32 v14, v33, v38
	;; [unrolled: 1-line block ×5, first 2 shown]
	v_fma_f32 v17, v61, v17, -v18
	v_mul_f32_e32 v18, v79, v55
	v_mul_f32_e32 v43, v34, v53
	;; [unrolled: 1-line block ×3, first 2 shown]
	v_fmac_f32_e32 v86, v41, v15
	v_fma_f32 v15, v62, v15, -v16
	v_fmac_f32_e32 v88, v42, v29
	v_fma_f32 v16, v63, v29, -v30
	;; [unrolled: 2-line block ×5, first 2 shown]
	v_fmac_f32_e32 v40, v34, v52
	v_fmac_f32_e32 v18, v51, v54
	v_fma_f32 v31, v69, v52, -v43
	v_fma_f32 v32, v79, v54, -v44
	v_add_f32_e32 v34, v84, v85
	v_sub_f32_e32 v35, v11, v12
	v_add_f32_e32 v36, v25, v11
	v_add_f32_e32 v11, v11, v12
	v_add_f32_e32 v39, v86, v87
	v_sub_f32_e32 v41, v15, v17
	v_add_f32_e32 v42, v26, v15
	v_add_f32_e32 v15, v15, v17
	;; [unrolled: 4-line block ×4, first 2 shown]
	v_add_f32_e32 v63, v40, v18
	v_add_f32_e32 v33, v23, v84
	v_sub_f32_e32 v37, v84, v85
	v_add_f32_e32 v62, v19, v40
	v_sub_f32_e32 v66, v31, v32
	v_add_f32_e32 v67, v56, v31
	v_add_f32_e32 v31, v31, v32
	v_fma_f32 v23, -0.5, v34, v23
	v_fma_f32 v11, -0.5, v11, v25
	v_add_f32_e32 v38, v24, v86
	v_sub_f32_e32 v43, v86, v87
	v_add_f32_e32 v44, v27, v88
	v_fmac_f32_e32 v24, -0.5, v39
	v_fmac_f32_e32 v26, -0.5, v15
	v_sub_f32_e32 v54, v88, v89
	v_add_f32_e32 v55, v28, v13
	v_sub_f32_e32 v13, v13, v20
	v_fma_f32 v27, -0.5, v51, v27
	v_fma_f32 v16, -0.5, v16, v64
	v_fmac_f32_e32 v28, -0.5, v57
	v_fmac_f32_e32 v65, -0.5, v14
	;; [unrolled: 1-line block ×3, first 2 shown]
	v_sub_f32_e32 v40, v40, v18
	v_add_f32_e32 v33, v33, v85
	v_add_f32_e32 v12, v36, v12
	;; [unrolled: 1-line block ×4, first 2 shown]
	v_fmac_f32_e32 v56, -0.5, v31
	v_fmamk_f32 v31, v35, 0xbf5db3d7, v23
	v_fmamk_f32 v32, v37, 0x3f5db3d7, v11
	v_fmac_f32_e32 v23, 0x3f5db3d7, v35
	v_fmac_f32_e32 v11, 0xbf5db3d7, v37
	v_add_f32_e32 v25, v38, v87
	v_add_f32_e32 v17, v42, v17
	;; [unrolled: 1-line block ×3, first 2 shown]
	v_fmamk_f32 v34, v41, 0xbf5db3d7, v24
	v_fmamk_f32 v44, v43, 0x3f5db3d7, v26
	v_fmac_f32_e32 v24, 0x3f5db3d7, v41
	v_fmac_f32_e32 v26, 0xbf5db3d7, v43
	v_add_f32_e32 v29, v53, v29
	v_add_f32_e32 v20, v55, v20
	v_fmamk_f32 v35, v52, 0xbf5db3d7, v27
	v_fmamk_f32 v53, v54, 0x3f5db3d7, v16
	v_fmac_f32_e32 v16, 0xbf5db3d7, v54
	v_fmamk_f32 v36, v60, 0xbf5db3d7, v28
	v_fmamk_f32 v54, v13, 0x3f5db3d7, v65
	v_fmac_f32_e32 v65, 0xbf5db3d7, v13
	v_fmamk_f32 v13, v66, 0xbf5db3d7, v19
	v_fmac_f32_e32 v19, 0x3f5db3d7, v66
	v_add_f32_e32 v30, v61, v30
	v_fmac_f32_e32 v27, 0x3f5db3d7, v52
	v_fmac_f32_e32 v28, 0x3f5db3d7, v60
	v_fmamk_f32 v55, v40, 0x3f5db3d7, v56
	v_fmac_f32_e32 v56, 0xbf5db3d7, v40
	ds_write2_b32 v58, v33, v31 offset1:13
	ds_write_b32 v58, v23 offset:104
	ds_write2_b32 v70, v25, v34 offset1:13
	ds_write_b32 v70, v24 offset:104
	;; [unrolled: 2-line block ×5, first 2 shown]
	s_waitcnt lgkmcnt(0)
	s_barrier
	buffer_gl0_inv
	ds_read2_b32 v[19:20], v0 offset1:117
	ds_read2_b32 v[34:35], v46 offset0:84 offset1:201
	ds_read2_b32 v[36:37], v48 offset0:18 offset1:135
	;; [unrolled: 1-line block ×6, first 2 shown]
	ds_read_b32 v79, v0 offset:6552
	s_waitcnt lgkmcnt(0)
	s_barrier
	buffer_gl0_inv
	ds_write2_b32 v58, v12, v32 offset1:13
	ds_write_b32 v58, v11 offset:104
	ds_write2_b32 v70, v17, v44 offset1:13
	ds_write_b32 v70, v26 offset:104
	;; [unrolled: 2-line block ×5, first 2 shown]
	v_mul_lo_u16 v6, v80, 39
	v_sub_nc_u16 v44, v8, v81
	v_lshlrev_b32_sdwa v22, v5, v78 dst_sel:DWORD dst_unused:UNUSED_PAD src0_sel:DWORD src1_sel:WORD_0
	s_waitcnt lgkmcnt(0)
	s_barrier
	v_sub_nc_u16 v60, v7, v6
	v_lshlrev_b32_sdwa v6, v5, v44 dst_sel:DWORD dst_unused:UNUSED_PAD src0_sel:DWORD src1_sel:WORD_0
	buffer_gl0_inv
	s_clause 0x1
	global_load_dwordx4 v[11:14], v82, s[12:13] offset:208
	global_load_dwordx4 v[22:25], v22, s[12:13] offset:208
	v_lshlrev_b32_sdwa v5, v5, v60 dst_sel:DWORD dst_unused:UNUSED_PAD src0_sel:DWORD src1_sel:WORD_0
	s_clause 0x2
	global_load_dwordx4 v[15:18], v83, s[12:13] offset:208
	global_load_dwordx4 v[26:29], v6, s[12:13] offset:208
	global_load_dwordx4 v[30:33], v5, s[12:13] offset:208
	v_mov_b32_e32 v53, 0x8c09
	v_lshlrev_b32_e32 v5, 1, v59
	v_lshlrev_b32_sdwa v66, v10, v78 dst_sel:DWORD dst_unused:UNUSED_PAD src0_sel:DWORD src1_sel:WORD_0
	v_lshlrev_b32_sdwa v44, v10, v44 dst_sel:DWORD dst_unused:UNUSED_PAD src0_sel:DWORD src1_sel:WORD_0
	;; [unrolled: 1-line block ×3, first 2 shown]
	v_mul_u32_u24_sdwa v6, v21, v53 dst_sel:DWORD dst_unused:UNUSED_PAD src0_sel:WORD_0 src1_sel:DWORD
	v_mul_u32_u24_sdwa v54, v8, v53 dst_sel:DWORD dst_unused:UNUSED_PAD src0_sel:WORD_0 src1_sel:DWORD
	;; [unrolled: 1-line block ×3, first 2 shown]
	ds_read2_b32 v[60:61], v9 offset0:62 offset1:179
	v_lshrrev_b32_e32 v55, 22, v6
	v_mov_b32_e32 v6, 0
	v_lshrrev_b32_e32 v57, 22, v54
	v_lshrrev_b32_e32 v56, 22, v56
	v_mul_lo_u16 v55, 0x75, v55
	v_lshlrev_b64 v[53:54], 3, v[5:6]
	v_mov_b32_e32 v5, 0x1d4
	v_mul_lo_u16 v57, 0x75, v57
	v_mul_lo_u16 v70, 0x75, v56
	v_sub_nc_u16 v55, v21, v55
	v_mul_u32_u24_sdwa v62, v71, v5 dst_sel:DWORD dst_unused:UNUSED_PAD src0_sel:WORD_0 src1_sel:DWORD
	v_mul_u32_u24_sdwa v63, v77, v5 dst_sel:DWORD dst_unused:UNUSED_PAD src0_sel:WORD_0 src1_sel:DWORD
	;; [unrolled: 1-line block ×5, first 2 shown]
	v_add3_u32 v71, 0, v62, v66
	v_lshlrev_b32_sdwa v66, v10, v74 dst_sel:DWORD dst_unused:UNUSED_PAD src0_sel:DWORD src1_sel:BYTE_0
	v_lshlrev_b32_sdwa v10, v10, v76 dst_sel:DWORD dst_unused:UNUSED_PAD src0_sel:DWORD src1_sel:BYTE_0
	v_sub_nc_u16 v8, v8, v57
	v_and_b32_e32 v75, 0xffff, v55
	ds_read2_b32 v[55:56], v46 offset0:84 offset1:201
	ds_read2_b32 v[57:58], v48 offset0:18 offset1:135
	v_add3_u32 v44, 0, v63, v44
	v_add3_u32 v72, 0, v64, v67
	ds_read2_b32 v[62:63], v49 offset0:124 offset1:241
	v_add3_u32 v73, 0, v65, v66
	ds_read2_b32 v[64:65], v50 offset0:40 offset1:157
	v_add3_u32 v5, 0, v5, v10
	ds_read2_b32 v[66:67], v0 offset1:117
	ds_read2_b32 v[68:69], v47 offset0:106 offset1:223
	ds_read_b32 v10, v0 offset:6552
	s_waitcnt vmcnt(0) lgkmcnt(0)
	s_barrier
	buffer_gl0_inv
	v_add_co_u32 v53, s0, s12, v53
	v_add_co_ci_u32_e64 v54, s0, s13, v54, s0
	v_mul_f32_e32 v74, v56, v12
	v_mul_f32_e32 v12, v35, v12
	;; [unrolled: 1-line block ×19, first 2 shown]
	v_fmac_f32_e32 v74, v35, v11
	v_fma_f32 v11, v56, v11, -v12
	v_fmac_f32_e32 v76, v36, v13
	v_fma_f32 v12, v57, v13, -v14
	v_mul_f32_e32 v13, v79, v33
	v_fmac_f32_e32 v77, v38, v15
	v_fma_f32 v14, v60, v15, -v16
	v_fmac_f32_e32 v78, v37, v17
	v_fma_f32 v15, v58, v17, -v18
	v_fmac_f32_e32 v80, v39, v22
	v_fma_f32 v16, v61, v22, -v23
	v_fmac_f32_e32 v81, v42, v24
	v_fma_f32 v17, v62, v24, -v25
	v_fmac_f32_e32 v82, v51, v26
	v_fmac_f32_e32 v83, v43, v28
	;; [unrolled: 1-line block ×4, first 2 shown]
	v_fma_f32 v18, v64, v26, -v27
	v_fma_f32 v22, v63, v28, -v29
	;; [unrolled: 1-line block ×4, first 2 shown]
	v_add_f32_e32 v24, v74, v76
	v_sub_f32_e32 v25, v11, v12
	v_add_f32_e32 v26, v66, v11
	v_add_f32_e32 v11, v11, v12
	v_add_f32_e32 v29, v77, v78
	v_sub_f32_e32 v30, v14, v15
	v_add_f32_e32 v31, v67, v14
	v_add_f32_e32 v14, v14, v15
	;; [unrolled: 4-line block ×3, first 2 shown]
	v_add_f32_e32 v42, v82, v83
	v_add_f32_e32 v57, v84, v85
	;; [unrolled: 1-line block ×3, first 2 shown]
	v_sub_f32_e32 v27, v74, v76
	v_sub_f32_e32 v43, v18, v22
	v_add_f32_e32 v51, v69, v18
	v_add_f32_e32 v18, v18, v22
	v_sub_f32_e32 v58, v23, v10
	v_add_f32_e32 v60, v55, v23
	v_add_f32_e32 v23, v23, v10
	v_fma_f32 v19, -0.5, v24, v19
	v_fma_f32 v11, -0.5, v11, v66
	v_add_f32_e32 v28, v20, v77
	v_sub_f32_e32 v32, v77, v78
	v_fmac_f32_e32 v20, -0.5, v29
	v_fmac_f32_e32 v67, -0.5, v14
	v_add_f32_e32 v33, v40, v80
	v_sub_f32_e32 v38, v80, v81
	v_add_f32_e32 v39, v41, v82
	v_add_f32_e32 v56, v34, v84
	;; [unrolled: 1-line block ×3, first 2 shown]
	v_fma_f32 v26, -0.5, v35, v40
	v_fma_f32 v16, -0.5, v16, v68
	v_fmac_f32_e32 v41, -0.5, v42
	v_fmac_f32_e32 v34, -0.5, v57
	v_sub_f32_e32 v52, v82, v83
	v_sub_f32_e32 v61, v84, v85
	v_add_f32_e32 v13, v13, v76
	v_fmac_f32_e32 v69, -0.5, v18
	v_fmac_f32_e32 v55, -0.5, v23
	v_fmamk_f32 v23, v25, 0xbf5db3d7, v19
	v_fmac_f32_e32 v19, 0x3f5db3d7, v25
	v_fmamk_f32 v25, v27, 0x3f5db3d7, v11
	v_fmac_f32_e32 v11, 0xbf5db3d7, v27
	v_add_f32_e32 v24, v28, v78
	v_add_f32_e32 v15, v31, v15
	v_fmamk_f32 v27, v30, 0xbf5db3d7, v20
	v_fmamk_f32 v29, v32, 0x3f5db3d7, v67
	v_fmac_f32_e32 v20, 0x3f5db3d7, v30
	v_fmac_f32_e32 v67, 0xbf5db3d7, v32
	v_add_f32_e32 v14, v33, v81
	v_add_f32_e32 v17, v37, v17
	;; [unrolled: 1-line block ×3, first 2 shown]
	v_fmamk_f32 v30, v36, 0xbf5db3d7, v26
	v_fmamk_f32 v42, v38, 0x3f5db3d7, v16
	;; [unrolled: 1-line block ×3, first 2 shown]
	v_fmac_f32_e32 v41, 0x3f5db3d7, v43
	v_fmamk_f32 v32, v58, 0xbf5db3d7, v34
	v_fmac_f32_e32 v34, 0x3f5db3d7, v58
	v_add_f32_e32 v28, v39, v83
	v_add_f32_e32 v22, v51, v22
	;; [unrolled: 1-line block ×3, first 2 shown]
	v_fmac_f32_e32 v26, 0x3f5db3d7, v36
	v_fmac_f32_e32 v16, 0xbf5db3d7, v38
	v_fmamk_f32 v43, v52, 0x3f5db3d7, v69
	v_fmac_f32_e32 v69, 0xbf5db3d7, v52
	v_fmamk_f32 v51, v61, 0x3f5db3d7, v55
	v_fmac_f32_e32 v55, 0xbf5db3d7, v61
	ds_write2_b32 v73, v13, v23 offset1:39
	ds_write_b32 v73, v19 offset:312
	ds_write2_b32 v5, v24, v27 offset1:39
	ds_write_b32 v5, v20 offset:312
	;; [unrolled: 2-line block ×5, first 2 shown]
	s_waitcnt lgkmcnt(0)
	s_barrier
	buffer_gl0_inv
	ds_read2_b32 v[18:19], v0 offset1:117
	ds_read2_b32 v[30:31], v46 offset0:84 offset1:201
	ds_read2_b32 v[32:33], v48 offset0:18 offset1:135
	;; [unrolled: 1-line block ×6, first 2 shown]
	ds_read_b32 v20, v0 offset:6552
	s_waitcnt lgkmcnt(0)
	s_barrier
	buffer_gl0_inv
	ds_write2_b32 v73, v12, v25 offset1:39
	ds_write_b32 v73, v11 offset:312
	ds_write2_b32 v5, v15, v29 offset1:39
	ds_write_b32 v5, v67 offset:312
	;; [unrolled: 2-line block ×5, first 2 shown]
	v_sub_nc_u16 v5, v7, v70
	v_and_b32_e32 v44, 0xffff, v8
	v_lshlrev_b32_e32 v7, 4, v75
	s_waitcnt lgkmcnt(0)
	s_barrier
	v_and_b32_e32 v5, 0xffff, v5
	v_lshlrev_b32_e32 v8, 4, v44
	buffer_gl0_inv
	s_clause 0x1
	global_load_dwordx4 v[10:13], v[53:54], off offset:832
	global_load_dwordx4 v[14:17], v7, s[12:13] offset:832
	v_lshlrev_b32_e32 v7, 4, v5
	s_clause 0x1
	global_load_dwordx4 v[22:25], v8, s[12:13] offset:832
	global_load_dwordx4 v[26:29], v7, s[12:13] offset:832
	ds_read2_b32 v[42:43], v46 offset0:84 offset1:201
	ds_read2_b32 v[7:8], v48 offset0:18 offset1:135
	ds_read2_b32 v[51:52], v9 offset0:62 offset1:179
	ds_read2_b32 v[53:54], v49 offset0:124 offset1:241
	ds_read2_b32 v[55:56], v50 offset0:40 offset1:157
	ds_read2_b32 v[57:58], v0 offset1:117
	ds_read2_b32 v[60:61], v47 offset0:106 offset1:223
	ds_read_b32 v66, v0 offset:6552
	v_lshl_add_u32 v62, v75, 2, 0
	v_lshl_add_u32 v44, v44, 2, 0
	;; [unrolled: 1-line block ×3, first 2 shown]
	s_waitcnt vmcnt(0) lgkmcnt(0)
	s_barrier
	v_add_nc_u32_e32 v63, 0xa00, v62
	v_add_nc_u32_e32 v64, 0x1000, v44
	;; [unrolled: 1-line block ×3, first 2 shown]
	buffer_gl0_inv
	v_mul_f32_e32 v67, v43, v11
	v_mul_f32_e32 v69, v7, v13
	;; [unrolled: 1-line block ×18, first 2 shown]
	v_fmac_f32_e32 v67, v31, v10
	v_fmac_f32_e32 v69, v32, v12
	v_mul_f32_e32 v27, v41, v27
	v_fmac_f32_e32 v71, v34, v10
	v_fmac_f32_e32 v72, v33, v12
	v_mul_f32_e32 v29, v20, v29
	v_fma_f32 v31, v43, v10, -v68
	v_fma_f32 v10, v51, v10, -v11
	;; [unrolled: 1-line block ×3, first 2 shown]
	v_fmac_f32_e32 v73, v35, v14
	v_fmac_f32_e32 v74, v38, v16
	;; [unrolled: 1-line block ×6, first 2 shown]
	v_fma_f32 v7, v7, v12, -v70
	v_fma_f32 v11, v52, v14, -v15
	;; [unrolled: 1-line block ×5, first 2 shown]
	v_add_f32_e32 v17, v67, v69
	v_fma_f32 v15, v56, v26, -v27
	v_add_f32_e32 v27, v71, v72
	v_fma_f32 v23, v66, v28, -v29
	v_sub_f32_e32 v28, v10, v8
	v_add_f32_e32 v29, v58, v10
	v_add_f32_e32 v10, v10, v8
	;; [unrolled: 1-line block ×6, first 2 shown]
	v_sub_f32_e32 v20, v31, v7
	v_sub_f32_e32 v41, v13, v14
	v_add_f32_e32 v43, v61, v13
	v_add_f32_e32 v13, v13, v14
	v_fma_f32 v17, -0.5, v17, v18
	v_add_f32_e32 v22, v57, v31
	v_add_f32_e32 v26, v19, v71
	;; [unrolled: 1-line block ×3, first 2 shown]
	v_fmac_f32_e32 v19, -0.5, v27
	v_sub_f32_e32 v34, v11, v12
	v_sub_f32_e32 v54, v15, v23
	v_add_f32_e32 v55, v42, v15
	v_add_f32_e32 v15, v15, v23
	v_fmac_f32_e32 v58, -0.5, v10
	v_fma_f32 v10, -0.5, v33, v36
	v_add_f32_e32 v35, v60, v11
	v_add_f32_e32 v11, v11, v12
	;; [unrolled: 1-line block ×4, first 2 shown]
	v_fmac_f32_e32 v37, -0.5, v40
	v_fmac_f32_e32 v30, -0.5, v53
	v_add_f32_e32 v16, v16, v69
	v_fmac_f32_e32 v61, -0.5, v13
	v_fmamk_f32 v13, v20, 0xbf5db3d7, v17
	v_add_f32_e32 v24, v31, v7
	v_add_f32_e32 v66, v22, v7
	;; [unrolled: 1-line block ×3, first 2 shown]
	v_fmac_f32_e32 v17, 0x3f5db3d7, v20
	v_add_f32_e32 v26, v29, v8
	v_add_f32_e32 v8, v32, v74
	;; [unrolled: 1-line block ×3, first 2 shown]
	v_fmamk_f32 v14, v28, 0xbf5db3d7, v19
	v_fmac_f32_e32 v19, 0x3f5db3d7, v28
	v_fmac_f32_e32 v42, -0.5, v15
	v_fmamk_f32 v15, v34, 0xbf5db3d7, v10
	v_add_f32_e32 v27, v35, v12
	v_fma_f32 v29, -0.5, v11, v60
	v_add_f32_e32 v11, v39, v76
	v_add_f32_e32 v12, v52, v78
	v_fmac_f32_e32 v10, 0x3f5db3d7, v34
	v_fmamk_f32 v18, v41, 0xbf5db3d7, v37
	v_fmamk_f32 v20, v54, 0xbf5db3d7, v30
	v_fmac_f32_e32 v37, 0x3f5db3d7, v41
	v_fmac_f32_e32 v30, 0x3f5db3d7, v54
	ds_write2_b32 v0, v16, v13 offset1:117
	ds_write2_b32 v47, v17, v7 offset0:106 offset1:223
	ds_write2_b32 v46, v14, v19 offset0:84 offset1:201
	;; [unrolled: 1-line block ×3, first 2 shown]
	ds_write_b32 v62, v10 offset:3744
	ds_write2_b32 v64, v11, v18 offset0:29 offset1:146
	ds_write_b32 v44, v37 offset:5148
	ds_write2_b32 v65, v12, v20 offset0:124 offset1:241
	ds_write_b32 v5, v30 offset:6552
	s_waitcnt lgkmcnt(0)
	s_barrier
	buffer_gl0_inv
	ds_read2_b32 v[7:8], v0 offset1:117
	ds_read2_b32 v[13:14], v47 offset0:106 offset1:223
	ds_read2_b32 v[9:10], v9 offset0:62 offset1:179
	ds_read2_b32 v[11:12], v50 offset0:40 offset1:157
	ds_read2_b32 v[15:16], v49 offset0:124 offset1:241
	ds_read2_b32 v[17:18], v46 offset0:84 offset1:201
	ds_read2_b32 v[19:20], v48 offset0:18 offset1:135
	ds_read_b32 v22, v0 offset:6552
	v_sub_f32_e32 v25, v67, v69
	v_fma_f32 v24, -0.5, v24, v57
	v_sub_f32_e32 v31, v71, v72
	v_sub_f32_e32 v38, v73, v74
	;; [unrolled: 1-line block ×4, first 2 shown]
	v_fmamk_f32 v33, v25, 0x3f5db3d7, v24
	v_fmac_f32_e32 v24, 0xbf5db3d7, v25
	v_fmamk_f32 v25, v31, 0x3f5db3d7, v58
	v_fmac_f32_e32 v58, 0xbf5db3d7, v31
	;; [unrolled: 2-line block ×4, first 2 shown]
	v_add_f32_e32 v23, v55, v23
	v_fmamk_f32 v30, v56, 0x3f5db3d7, v42
	v_fmac_f32_e32 v42, 0xbf5db3d7, v56
	s_waitcnt lgkmcnt(0)
	s_barrier
	buffer_gl0_inv
	ds_write2_b32 v0, v66, v33 offset1:117
	ds_write2_b32 v47, v24, v26 offset0:106 offset1:223
	ds_write2_b32 v46, v25, v58 offset0:84 offset1:201
	;; [unrolled: 1-line block ×3, first 2 shown]
	ds_write_b32 v62, v29 offset:3744
	ds_write2_b32 v64, v32, v31 offset0:29 offset1:146
	ds_write_b32 v44, v61 offset:5148
	ds_write2_b32 v65, v23, v30 offset0:124 offset1:241
	ds_write_b32 v5, v42 offset:6552
	s_waitcnt lgkmcnt(0)
	s_barrier
	buffer_gl0_inv
	s_and_saveexec_b32 s0, vcc_lo
	s_cbranch_execz .LBB0_21
; %bb.20:
	v_lshlrev_b32_e32 v5, 2, v21
	v_mul_hi_u32 v52, 0x756cac21, v59
	v_add_nc_u32_e32 v60, 0x75, v59
	v_mul_lo_u32 v51, s4, v4
	v_add_nc_u32_e32 v47, 0x600, v0
	v_lshlrev_b64 v[23:24], 3, v[5:6]
	v_lshlrev_b32_e32 v5, 2, v45
	v_mul_hi_u32 v61, 0x756cac21, v60
	v_add_nc_u32_e32 v49, 0xe00, v0
	v_sub_nc_u32_e32 v48, v59, v52
	v_add_nc_u32_e32 v53, 0x1200, v0
	v_add_co_u32 v21, vcc_lo, s12, v23
	v_add_co_ci_u32_e32 v25, vcc_lo, s13, v24, vcc_lo
	v_lshlrev_b64 v[31:32], 3, v[5:6]
	v_add_co_u32 v23, vcc_lo, 0x800, v21
	v_add_co_ci_u32_e32 v24, vcc_lo, 0, v25, vcc_lo
	v_add_co_u32 v27, vcc_lo, 0xa90, v21
	v_add_co_ci_u32_e32 v28, vcc_lo, 0, v25, vcc_lo
	;; [unrolled: 2-line block ×3, first 2 shown]
	s_clause 0x1
	global_load_dwordx4 v[23:26], v[23:24], off offset:656
	global_load_dwordx4 v[27:30], v[27:28], off offset:16
	v_add_co_u32 v31, vcc_lo, 0x800, v5
	v_add_co_ci_u32_e32 v32, vcc_lo, 0, v21, vcc_lo
	v_add_co_u32 v35, vcc_lo, 0xa90, v5
	v_lshlrev_b32_e32 v5, 2, v59
	v_add_co_ci_u32_e32 v36, vcc_lo, 0, v21, vcc_lo
	s_clause 0x1
	global_load_dwordx4 v[31:34], v[31:32], off offset:656
	global_load_dwordx4 v[35:38], v[35:36], off offset:16
	v_lshlrev_b64 v[5:6], 3, v[5:6]
	v_lshrrev_b32_e32 v56, 1, v48
	v_add_nc_u32_e32 v54, 0x200, v0
	v_add_nc_u32_e32 v55, 0xa00, v0
	;; [unrolled: 1-line block ×3, first 2 shown]
	v_add_co_u32 v21, vcc_lo, s12, v5
	v_add_co_ci_u32_e32 v39, vcc_lo, s13, v6, vcc_lo
	v_add_nc_u32_e32 v56, v56, v52
	v_add_co_u32 v5, vcc_lo, 0x800, v21
	v_add_co_ci_u32_e32 v6, vcc_lo, 0, v39, vcc_lo
	v_add_co_u32 v43, vcc_lo, 0xa90, v21
	v_add_co_ci_u32_e32 v44, vcc_lo, 0, v39, vcc_lo
	s_clause 0x1
	global_load_dwordx4 v[39:42], v[5:6], off offset:656
	global_load_dwordx4 v[43:46], v[43:44], off offset:16
	v_mul_lo_u32 v21, s5, v3
	v_mad_u64_u32 v[3:4], null, s4, v3, 0
	ds_read_b32 v76, v0 offset:6552
	ds_read2_b32 v[5:6], v0 offset1:117
	v_lshlrev_b64 v[0:1], 3, v[1:2]
	v_sub_nc_u32_e32 v2, v60, v61
	v_lshrrev_b32_e32 v62, 8, v56
	ds_read2_b32 v[47:48], v47 offset0:84 offset1:201
	ds_read2_b32 v[49:50], v49 offset0:40 offset1:157
	v_add3_u32 v4, v4, v51, v21
	ds_read2_b32 v[51:52], v53 offset0:18 offset1:135
	ds_read2_b32 v[53:54], v54 offset0:106 offset1:223
	v_lshrrev_b32_e32 v21, 1, v2
	ds_read2_b32 v[55:56], v55 offset0:62 offset1:179
	ds_read2_b32 v[57:58], v57 offset0:124 offset1:241
	v_lshlrev_b64 v[2:3], 3, v[3:4]
	v_add_nc_u32_e32 v4, v21, v61
	v_mul_u32_u24_e32 v21, 0x15f, v62
	v_add_co_u32 v2, vcc_lo, s10, v2
	v_lshrrev_b32_e32 v4, 8, v4
	v_add_co_ci_u32_e32 v3, vcc_lo, s11, v3, vcc_lo
	v_sub_nc_u32_e32 v21, v59, v21
	v_add_co_u32 v77, vcc_lo, v2, v0
	v_mul_u32_u24_e32 v2, 0x15f, v4
	v_add_co_ci_u32_e32 v78, vcc_lo, v3, v1, vcc_lo
	v_add_nc_u32_e32 v71, 0x15f, v21
	v_add_nc_u32_e32 v73, 0x2be, v21
	;; [unrolled: 1-line block ×3, first 2 shown]
	v_sub_nc_u32_e32 v64, v60, v2
	v_mad_u64_u32 v[0:1], null, s2, v21, 0
	v_mad_u64_u32 v[2:3], null, s2, v71, 0
	v_add_nc_u32_e32 v75, 0x57c, v21
	v_mad_u64_u32 v[60:61], null, s2, v73, 0
	v_mad_u64_u32 v[62:63], null, s2, v74, 0
	v_mad_u32_u24 v79, 0x6db, v4, v64
	v_mad_u64_u32 v[64:65], null, s2, v75, 0
	v_mad_u64_u32 v[68:69], null, s3, v21, v[1:2]
	;; [unrolled: 1-line block ×3, first 2 shown]
	v_add_nc_u32_e32 v80, 0x15f, v79
	v_mov_b32_e32 v1, v3
	v_mov_b32_e32 v3, v61
	;; [unrolled: 1-line block ×4, first 2 shown]
	v_mad_u64_u32 v[69:70], null, s2, v80, 0
	v_mad_u64_u32 v[71:72], null, s3, v71, v[1:2]
	;; [unrolled: 1-line block ×3, first 2 shown]
	v_mov_b32_e32 v3, v67
	s_waitcnt lgkmcnt(6)
	v_mad_u64_u32 v[73:74], null, s3, v74, v[4:5]
	v_mov_b32_e32 v1, v68
	v_mad_u64_u32 v[67:68], null, s3, v75, v[21:22]
	v_mad_u64_u32 v[74:75], null, s3, v79, v[3:4]
	v_mov_b32_e32 v4, v70
	v_mov_b32_e32 v3, v71
	;; [unrolled: 1-line block ×5, first 2 shown]
	v_mad_u64_u32 v[70:71], null, s3, v80, v[4:5]
	v_mov_b32_e32 v67, v74
	v_lshlrev_b64 v[0:1], 3, v[0:1]
	v_lshlrev_b64 v[2:3], 3, v[2:3]
	;; [unrolled: 1-line block ×5, first 2 shown]
	v_add_nc_u32_e32 v81, 0x2be, v79
	v_add_co_u32 v0, vcc_lo, v77, v0
	v_add_co_ci_u32_e32 v1, vcc_lo, v78, v1, vcc_lo
	v_add_co_u32 v2, vcc_lo, v77, v2
	v_add_co_ci_u32_e32 v3, vcc_lo, v78, v3, vcc_lo
	;; [unrolled: 2-line block ×5, first 2 shown]
	v_lshlrev_b64 v[66:67], 3, v[66:67]
	s_waitcnt vmcnt(5)
	v_mul_f32_e32 v4, v18, v24
	v_mul_f32_e32 v21, v11, v26
	s_waitcnt vmcnt(4)
	v_mul_f32_e32 v68, v22, v30
	v_mul_f32_e32 v71, v20, v28
	s_waitcnt lgkmcnt(5)
	v_mul_f32_e32 v24, v48, v24
	v_mul_f32_e32 v30, v76, v30
	s_waitcnt lgkmcnt(4)
	v_mul_f32_e32 v26, v49, v26
	s_waitcnt lgkmcnt(3)
	v_mul_f32_e32 v28, v52, v28
	v_fma_f32 v4, v48, v23, -v4
	v_fma_f32 v21, v49, v25, -v21
	;; [unrolled: 1-line block ×4, first 2 shown]
	v_fmac_f32_e32 v24, v18, v23
	v_fmac_f32_e32 v30, v22, v29
	;; [unrolled: 1-line block ×4, first 2 shown]
	s_waitcnt vmcnt(3)
	v_mul_f32_e32 v11, v17, v32
	v_mul_f32_e32 v18, v10, v34
	s_waitcnt vmcnt(2)
	v_mul_f32_e32 v20, v16, v38
	v_mul_f32_e32 v22, v19, v36
	s_waitcnt lgkmcnt(1)
	v_mul_f32_e32 v23, v56, v34
	v_mul_f32_e32 v25, v51, v36
	;; [unrolled: 1-line block ×3, first 2 shown]
	s_waitcnt lgkmcnt(0)
	v_mul_f32_e32 v29, v58, v38
	v_sub_f32_e32 v32, v4, v21
	v_sub_f32_e32 v34, v48, v49
	v_add_f32_e32 v36, v21, v49
	v_sub_f32_e32 v38, v24, v30
	v_sub_f32_e32 v68, v24, v26
	;; [unrolled: 1-line block ×3, first 2 shown]
	v_add_f32_e32 v72, v26, v28
	v_sub_f32_e32 v73, v4, v48
	v_sub_f32_e32 v75, v21, v4
	v_fma_f32 v47, v47, v31, -v11
	v_sub_f32_e32 v76, v49, v48
	v_add_f32_e32 v80, v4, v48
	v_fma_f32 v51, v51, v35, -v22
	v_sub_f32_e32 v22, v26, v24
	v_sub_f32_e32 v82, v28, v30
	v_fmac_f32_e32 v25, v19, v35
	v_add_f32_e32 v19, v24, v30
	v_add_f32_e32 v4, v4, v53
	;; [unrolled: 1-line block ×3, first 2 shown]
	v_fma_f32 v35, v56, v33, -v18
	v_fma_f32 v56, v58, v37, -v20
	v_fmac_f32_e32 v23, v10, v33
	v_fmac_f32_e32 v27, v17, v31
	;; [unrolled: 1-line block ×3, first 2 shown]
	s_waitcnt vmcnt(1)
	v_mul_f32_e32 v18, v14, v40
	v_mul_f32_e32 v20, v9, v42
	s_waitcnt vmcnt(0)
	v_mul_f32_e32 v31, v15, v46
	v_mul_f32_e32 v33, v12, v44
	v_mul_f32_e32 v42, v55, v42
	v_mul_f32_e32 v44, v50, v44
	v_mul_f32_e32 v37, v54, v40
	v_mul_f32_e32 v40, v57, v46
	v_sub_f32_e32 v52, v26, v28
	v_sub_f32_e32 v74, v21, v49
	v_add_f32_e32 v32, v32, v34
	v_fma_f32 v11, -0.5, v36, v53
	v_add_f32_e32 v34, v68, v71
	v_fma_f32 v10, -0.5, v72, v13
	;; [unrolled: 2-line block ×4, first 2 shown]
	v_add_f32_e32 v4, v21, v4
	v_add_f32_e32 v19, v24, v26
	v_sub_f32_e32 v21, v47, v35
	v_sub_f32_e32 v58, v27, v29
	v_add_f32_e32 v24, v35, v51
	v_sub_f32_e32 v26, v27, v23
	v_sub_f32_e32 v68, v29, v25
	v_add_f32_e32 v71, v23, v25
	v_sub_f32_e32 v72, v47, v56
	v_fma_f32 v54, v54, v39, -v18
	v_add_f32_e32 v76, v47, v6
	v_fma_f32 v55, v55, v41, -v20
	v_add_f32_e32 v20, v8, v27
	v_sub_f32_e32 v80, v35, v47
	v_fma_f32 v57, v57, v45, -v31
	v_sub_f32_e32 v31, v51, v56
	v_add_f32_e32 v47, v47, v56
	v_sub_f32_e32 v82, v23, v27
	v_fma_f32 v33, v50, v43, -v33
	v_add_f32_e32 v27, v27, v29
	v_fmac_f32_e32 v42, v9, v41
	v_fmac_f32_e32 v44, v12, v43
	;; [unrolled: 1-line block ×4, first 2 shown]
	v_sub_f32_e32 v75, v35, v51
	v_fmamk_f32 v15, v52, 0x3f737871, v17
	v_fmac_f32_e32 v17, 0xbf737871, v52
	v_add_f32_e32 v28, v19, v28
	v_fma_f32 v19, -0.5, v24, v6
	v_add_f32_e32 v41, v26, v68
	v_fma_f32 v18, -0.5, v71, v8
	v_add_f32_e32 v24, v35, v76
	v_add_f32_e32 v26, v20, v23
	;; [unrolled: 1-line block ×3, first 2 shown]
	v_fma_f32 v9, -0.5, v47, v6
	v_fma_f32 v8, -0.5, v27, v8
	v_sub_f32_e32 v6, v54, v55
	v_sub_f32_e32 v27, v57, v33
	v_add_f32_e32 v31, v55, v33
	v_add_f32_e32 v68, v42, v44
	v_sub_f32_e32 v22, v56, v51
	v_add_f32_e32 v4, v49, v4
	v_add_f32_e32 v83, v54, v57
	v_add_f32_e32 v86, v37, v40
	v_fmamk_f32 v13, v38, 0xbf737871, v11
	v_fmamk_f32 v12, v73, 0x3f737871, v10
	v_fmac_f32_e32 v11, 0x3f737871, v38
	v_fmac_f32_e32 v10, 0xbf737871, v73
	v_sub_f32_e32 v45, v37, v40
	v_sub_f32_e32 v49, v37, v42
	;; [unrolled: 1-line block ×5, first 2 shown]
	v_add_f32_e32 v54, v54, v5
	v_add_f32_e32 v37, v7, v37
	v_sub_f32_e32 v50, v25, v29
	v_fmac_f32_e32 v15, 0xbf167918, v38
	v_fmac_f32_e32 v17, 0x3f167918, v38
	v_add_f32_e32 v20, v30, v28
	v_add_f32_e32 v28, v51, v24
	;; [unrolled: 1-line block ×4, first 2 shown]
	v_fma_f32 v27, -0.5, v31, v5
	v_fma_f32 v26, -0.5, v68, v7
	v_add_f32_e32 v39, v21, v22
	v_sub_f32_e32 v47, v42, v44
	v_sub_f32_e32 v76, v55, v33
	v_add_f32_e32 v21, v48, v4
	v_fma_f32 v5, -0.5, v83, v5
	v_fma_f32 v4, -0.5, v86, v7
	v_fmac_f32_e32 v13, 0xbf167918, v52
	v_fmac_f32_e32 v12, 0x3f167918, v74
	;; [unrolled: 1-line block ×4, first 2 shown]
	v_add_f32_e32 v51, v55, v54
	v_add_f32_e32 v37, v37, v42
	v_add_f32_e32 v43, v82, v50
	v_sub_f32_e32 v50, v40, v44
	v_add_f32_e32 v7, v56, v28
	v_add_f32_e32 v6, v29, v30
	v_fmamk_f32 v29, v45, 0xbf737871, v27
	v_fmamk_f32 v28, v71, 0x3f737871, v26
	v_fmac_f32_e32 v27, 0x3f737871, v45
	v_fmac_f32_e32 v26, 0xbf737871, v71
	v_sub_f32_e32 v82, v33, v57
	v_sub_f32_e32 v85, v44, v40
	v_fmamk_f32 v31, v47, 0x3f737871, v5
	v_fmamk_f32 v30, v76, 0xbf737871, v4
	v_fmac_f32_e32 v5, 0xbf737871, v47
	v_fmac_f32_e32 v4, 0x3f737871, v76
	;; [unrolled: 1-line block ×6, first 2 shown]
	v_add_f32_e32 v32, v33, v51
	v_add_f32_e32 v34, v37, v44
	;; [unrolled: 1-line block ×3, first 2 shown]
	v_fmac_f32_e32 v27, 0x3f167918, v47
	v_fmac_f32_e32 v26, 0xbf167918, v76
	v_add_f32_e32 v49, v80, v82
	v_add_f32_e32 v50, v84, v85
	v_fmac_f32_e32 v5, 0x3f167918, v45
	v_fmac_f32_e32 v4, 0xbf167918, v71
	;; [unrolled: 1-line block ×6, first 2 shown]
	v_add_f32_e32 v33, v57, v32
	v_add_f32_e32 v32, v40, v34
	v_fmac_f32_e32 v27, 0x3e9e377a, v38
	v_fmac_f32_e32 v26, 0x3e9e377a, v48
	;; [unrolled: 1-line block ×8, first 2 shown]
	global_store_dwordx2 v[0:1], v[32:33], off
	global_store_dwordx2 v[2:3], v[26:27], off
	;; [unrolled: 1-line block ×5, first 2 shown]
	v_add_nc_u32_e32 v32, 0xea, v59
	v_add_nc_u32_e32 v30, 0x41d, v79
	v_mad_u64_u32 v[0:1], null, s2, v81, 0
	v_add_co_u32 v4, vcc_lo, v77, v66
	v_mul_hi_u32 v33, 0x756cac21, v32
	v_mad_u64_u32 v[2:3], null, s2, v30, 0
	v_add_nc_u32_e32 v34, 0x57c, v79
	v_add_co_ci_u32_e32 v5, vcc_lo, v78, v67, vcc_lo
	v_sub_f32_e32 v53, v23, v25
	v_fmamk_f32 v23, v58, 0x3f737871, v19
	v_sub_nc_u32_e32 v31, v32, v33
	v_mad_u64_u32 v[28:29], null, s3, v81, v[1:2]
	v_mad_u64_u32 v[29:30], null, s3, v30, v[3:4]
	v_lshrrev_b32_e32 v1, 1, v31
	v_mad_u64_u32 v[30:31], null, s2, v34, 0
	global_store_dwordx2 v[4:5], v[6:7], off
	v_fmamk_f32 v22, v72, 0xbf737871, v18
	v_add_nc_u32_e32 v1, v1, v33
	v_lshlrev_b64 v[26:27], 3, v[69:70]
	v_mov_b32_e32 v3, v29
	v_fmamk_f32 v25, v53, 0x3f737871, v9
	v_mov_b32_e32 v4, v31
	v_lshrrev_b32_e32 v6, 8, v1
	v_mov_b32_e32 v1, v28
	v_fmac_f32_e32 v9, 0xbf737871, v53
	v_fmamk_f32 v24, v75, 0xbf737871, v8
	v_fmac_f32_e32 v8, 0x3f737871, v75
	v_fmac_f32_e32 v23, 0x3f167918, v53
	v_lshlrev_b64 v[0:1], 3, v[0:1]
	v_fmac_f32_e32 v22, 0xbf167918, v75
	v_mul_u32_u24_e32 v7, 0x15f, v6
	v_add_co_u32 v26, vcc_lo, v77, v26
	v_lshlrev_b64 v[2:3], 3, v[2:3]
	v_add_co_ci_u32_e32 v27, vcc_lo, v78, v27, vcc_lo
	v_mad_u64_u32 v[4:5], null, s3, v34, v[4:5]
	v_fmac_f32_e32 v25, 0xbf167918, v58
	v_fmac_f32_e32 v9, 0x3f167918, v58
	;; [unrolled: 1-line block ×6, first 2 shown]
	v_sub_nc_u32_e32 v5, v32, v7
	v_add_co_u32 v0, vcc_lo, v77, v0
	v_add_co_ci_u32_e32 v1, vcc_lo, v78, v1, vcc_lo
	v_add_co_u32 v2, vcc_lo, v77, v2
	v_fmac_f32_e32 v25, 0x3e9e377a, v35
	v_fmac_f32_e32 v9, 0x3e9e377a, v35
	;; [unrolled: 1-line block ×4, first 2 shown]
	global_store_dwordx2 v[26:27], v[22:23], off
	v_mad_u32_u24 v26, 0x6db, v6, v5
	v_add_co_ci_u32_e32 v3, vcc_lo, v78, v3, vcc_lo
	global_store_dwordx2 v[0:1], v[8:9], off
	v_mov_b32_e32 v31, v4
	v_add_nc_u32_e32 v22, 0x15f, v26
	global_store_dwordx2 v[2:3], v[24:25], off
	v_add_nc_u32_e32 v25, 0x2be, v26
	v_mad_u64_u32 v[4:5], null, s2, v26, 0
	v_mad_u64_u32 v[2:3], null, s2, v22, 0
	;; [unrolled: 1-line block ×3, first 2 shown]
	v_fmac_f32_e32 v19, 0xbf737871, v58
	v_fmac_f32_e32 v18, 0x3f737871, v72
	v_lshlrev_b64 v[0:1], 3, v[30:31]
	v_add_nc_u32_e32 v27, 0x41d, v26
	v_mad_u64_u32 v[22:23], null, s3, v22, v[3:4]
	v_fmac_f32_e32 v19, 0xbf167918, v53
	v_fmac_f32_e32 v18, 0x3f167918, v75
	v_mad_u64_u32 v[8:9], null, s3, v26, v[5:6]
	v_mad_u64_u32 v[23:24], null, s2, v27, 0
	v_add_co_u32 v0, vcc_lo, v77, v0
	v_add_nc_u32_e32 v28, 0x57c, v26
	v_fmac_f32_e32 v19, 0x3e9e377a, v39
	v_fmac_f32_e32 v18, 0x3e9e377a, v41
	v_add_co_ci_u32_e32 v1, vcc_lo, v78, v1, vcc_lo
	v_mov_b32_e32 v3, v7
	v_mov_b32_e32 v5, v8
	v_mad_u64_u32 v[8:9], null, s2, v28, 0
	global_store_dwordx2 v[0:1], v[18:19], off
	v_mad_u64_u32 v[25:26], null, s3, v25, v[3:4]
	v_mov_b32_e32 v0, v24
	v_mov_b32_e32 v3, v22
	v_lshlrev_b64 v[4:5], 3, v[4:5]
	v_fmamk_f32 v14, v74, 0xbf737871, v16
	v_fmac_f32_e32 v16, 0x3f737871, v74
	v_mad_u64_u32 v[0:1], null, s3, v27, v[0:1]
	v_lshlrev_b64 v[2:3], 3, v[2:3]
	v_mov_b32_e32 v1, v9
	v_mov_b32_e32 v7, v25
	v_add_co_u32 v4, vcc_lo, v77, v4
	v_add_co_ci_u32_e32 v5, vcc_lo, v78, v5, vcc_lo
	v_mad_u64_u32 v[18:19], null, s3, v28, v[1:2]
	v_mov_b32_e32 v24, v0
	v_lshlrev_b64 v[6:7], 3, v[6:7]
	v_add_co_u32 v0, vcc_lo, v77, v2
	v_add_co_ci_u32_e32 v1, vcc_lo, v78, v3, vcc_lo
	v_mov_b32_e32 v9, v18
	v_lshlrev_b64 v[2:3], 3, v[23:24]
	v_add_co_u32 v6, vcc_lo, v77, v6
	v_fmac_f32_e32 v16, 0xbf167918, v73
	v_lshlrev_b64 v[8:9], 3, v[8:9]
	v_fmac_f32_e32 v14, 0x3f167918, v73
	v_add_co_ci_u32_e32 v7, vcc_lo, v78, v7, vcc_lo
	v_add_co_u32 v2, vcc_lo, v77, v2
	v_add_co_ci_u32_e32 v3, vcc_lo, v78, v3, vcc_lo
	v_fmac_f32_e32 v17, 0x3e9e377a, v36
	v_fmac_f32_e32 v16, 0x3e9e377a, v46
	v_add_co_u32 v8, vcc_lo, v77, v8
	v_fmac_f32_e32 v15, 0x3e9e377a, v36
	v_fmac_f32_e32 v14, 0x3e9e377a, v46
	v_add_co_ci_u32_e32 v9, vcc_lo, v78, v9, vcc_lo
	global_store_dwordx2 v[4:5], v[20:21], off
	global_store_dwordx2 v[0:1], v[10:11], off
	;; [unrolled: 1-line block ×5, first 2 shown]
.LBB0_21:
	s_endpgm
	.section	.rodata,"a",@progbits
	.p2align	6, 0x0
	.amdhsa_kernel fft_rtc_back_len1755_factors_13_3_3_3_5_wgs_117_tpt_117_halfLds_sp_op_CI_CI_sbrr_dirReg
		.amdhsa_group_segment_fixed_size 0
		.amdhsa_private_segment_fixed_size 0
		.amdhsa_kernarg_size 104
		.amdhsa_user_sgpr_count 6
		.amdhsa_user_sgpr_private_segment_buffer 1
		.amdhsa_user_sgpr_dispatch_ptr 0
		.amdhsa_user_sgpr_queue_ptr 0
		.amdhsa_user_sgpr_kernarg_segment_ptr 1
		.amdhsa_user_sgpr_dispatch_id 0
		.amdhsa_user_sgpr_flat_scratch_init 0
		.amdhsa_user_sgpr_private_segment_size 0
		.amdhsa_wavefront_size32 1
		.amdhsa_uses_dynamic_stack 0
		.amdhsa_system_sgpr_private_segment_wavefront_offset 0
		.amdhsa_system_sgpr_workgroup_id_x 1
		.amdhsa_system_sgpr_workgroup_id_y 0
		.amdhsa_system_sgpr_workgroup_id_z 0
		.amdhsa_system_sgpr_workgroup_info 0
		.amdhsa_system_vgpr_workitem_id 0
		.amdhsa_next_free_vgpr 90
		.amdhsa_next_free_sgpr 31
		.amdhsa_reserve_vcc 1
		.amdhsa_reserve_flat_scratch 0
		.amdhsa_float_round_mode_32 0
		.amdhsa_float_round_mode_16_64 0
		.amdhsa_float_denorm_mode_32 3
		.amdhsa_float_denorm_mode_16_64 3
		.amdhsa_dx10_clamp 1
		.amdhsa_ieee_mode 1
		.amdhsa_fp16_overflow 0
		.amdhsa_workgroup_processor_mode 1
		.amdhsa_memory_ordered 1
		.amdhsa_forward_progress 0
		.amdhsa_shared_vgpr_count 0
		.amdhsa_exception_fp_ieee_invalid_op 0
		.amdhsa_exception_fp_denorm_src 0
		.amdhsa_exception_fp_ieee_div_zero 0
		.amdhsa_exception_fp_ieee_overflow 0
		.amdhsa_exception_fp_ieee_underflow 0
		.amdhsa_exception_fp_ieee_inexact 0
		.amdhsa_exception_int_div_zero 0
	.end_amdhsa_kernel
	.text
.Lfunc_end0:
	.size	fft_rtc_back_len1755_factors_13_3_3_3_5_wgs_117_tpt_117_halfLds_sp_op_CI_CI_sbrr_dirReg, .Lfunc_end0-fft_rtc_back_len1755_factors_13_3_3_3_5_wgs_117_tpt_117_halfLds_sp_op_CI_CI_sbrr_dirReg
                                        ; -- End function
	.section	.AMDGPU.csdata,"",@progbits
; Kernel info:
; codeLenInByte = 15704
; NumSgprs: 33
; NumVgprs: 90
; ScratchSize: 0
; MemoryBound: 0
; FloatMode: 240
; IeeeMode: 1
; LDSByteSize: 0 bytes/workgroup (compile time only)
; SGPRBlocks: 4
; VGPRBlocks: 11
; NumSGPRsForWavesPerEU: 33
; NumVGPRsForWavesPerEU: 90
; Occupancy: 10
; WaveLimiterHint : 1
; COMPUTE_PGM_RSRC2:SCRATCH_EN: 0
; COMPUTE_PGM_RSRC2:USER_SGPR: 6
; COMPUTE_PGM_RSRC2:TRAP_HANDLER: 0
; COMPUTE_PGM_RSRC2:TGID_X_EN: 1
; COMPUTE_PGM_RSRC2:TGID_Y_EN: 0
; COMPUTE_PGM_RSRC2:TGID_Z_EN: 0
; COMPUTE_PGM_RSRC2:TIDIG_COMP_CNT: 0
	.text
	.p2alignl 6, 3214868480
	.fill 48, 4, 3214868480
	.type	__hip_cuid_7418f7e37bbb242f,@object ; @__hip_cuid_7418f7e37bbb242f
	.section	.bss,"aw",@nobits
	.globl	__hip_cuid_7418f7e37bbb242f
__hip_cuid_7418f7e37bbb242f:
	.byte	0                               ; 0x0
	.size	__hip_cuid_7418f7e37bbb242f, 1

	.ident	"AMD clang version 19.0.0git (https://github.com/RadeonOpenCompute/llvm-project roc-6.4.0 25133 c7fe45cf4b819c5991fe208aaa96edf142730f1d)"
	.section	".note.GNU-stack","",@progbits
	.addrsig
	.addrsig_sym __hip_cuid_7418f7e37bbb242f
	.amdgpu_metadata
---
amdhsa.kernels:
  - .args:
      - .actual_access:  read_only
        .address_space:  global
        .offset:         0
        .size:           8
        .value_kind:     global_buffer
      - .offset:         8
        .size:           8
        .value_kind:     by_value
      - .actual_access:  read_only
        .address_space:  global
        .offset:         16
        .size:           8
        .value_kind:     global_buffer
      - .actual_access:  read_only
        .address_space:  global
        .offset:         24
        .size:           8
        .value_kind:     global_buffer
      - .actual_access:  read_only
        .address_space:  global
        .offset:         32
        .size:           8
        .value_kind:     global_buffer
      - .offset:         40
        .size:           8
        .value_kind:     by_value
      - .actual_access:  read_only
        .address_space:  global
        .offset:         48
        .size:           8
        .value_kind:     global_buffer
      - .actual_access:  read_only
        .address_space:  global
        .offset:         56
        .size:           8
        .value_kind:     global_buffer
      - .offset:         64
        .size:           4
        .value_kind:     by_value
      - .actual_access:  read_only
        .address_space:  global
        .offset:         72
        .size:           8
        .value_kind:     global_buffer
      - .actual_access:  read_only
        .address_space:  global
        .offset:         80
        .size:           8
        .value_kind:     global_buffer
      - .actual_access:  read_only
        .address_space:  global
        .offset:         88
        .size:           8
        .value_kind:     global_buffer
      - .actual_access:  write_only
        .address_space:  global
        .offset:         96
        .size:           8
        .value_kind:     global_buffer
    .group_segment_fixed_size: 0
    .kernarg_segment_align: 8
    .kernarg_segment_size: 104
    .language:       OpenCL C
    .language_version:
      - 2
      - 0
    .max_flat_workgroup_size: 117
    .name:           fft_rtc_back_len1755_factors_13_3_3_3_5_wgs_117_tpt_117_halfLds_sp_op_CI_CI_sbrr_dirReg
    .private_segment_fixed_size: 0
    .sgpr_count:     33
    .sgpr_spill_count: 0
    .symbol:         fft_rtc_back_len1755_factors_13_3_3_3_5_wgs_117_tpt_117_halfLds_sp_op_CI_CI_sbrr_dirReg.kd
    .uniform_work_group_size: 1
    .uses_dynamic_stack: false
    .vgpr_count:     90
    .vgpr_spill_count: 0
    .wavefront_size: 32
    .workgroup_processor_mode: 1
amdhsa.target:   amdgcn-amd-amdhsa--gfx1030
amdhsa.version:
  - 1
  - 2
...

	.end_amdgpu_metadata
